;; amdgpu-corpus repo=ROCm/aiter kind=harvested arch=n/a opt=n/a

/root/src/amdgpu-assembly/repos/ROCm__aiter/hsa/gfx942/i8gemm/I8gemm_bf16_perTokenI8_BpreShuffle_160x128.co:	file format elf64-amdgpu

Disassembly of section .text:

0000000000002000 <_ZN5aiter42I8gemm_bf16_perTokenI8_BpreShuffle_160x128E>:
	s_and_b32 s1, s1, 0xffff                                   // 000000002000: 8601FF01 0000FFFF
	s_load_dwordx2 s[16:17], s[0:1], 0x0                       // 000000002008: C0060400 00000000
	s_load_dwordx2 s[4:5], s[0:1], 0x10                        // 000000002010: C0060100 00000010
	s_load_dwordx2 s[8:9], s[0:1], 0x20                        // 000000002018: C0060200 00000020
	s_load_dwordx2 s[20:21], s[0:1], 0x30                      // 000000002020: C0060500 00000030
	s_load_dwordx2 s[24:25], s[0:1], 0x40                      // 000000002028: C0060600 00000040
	s_load_dwordx2 s[28:29], s[0:1], 0x50                      // 000000002030: C0060700 00000050
	s_load_dword s32, s[0:1], 0x60                             // 000000002038: C0020800 00000060
	s_load_dword s33, s[0:1], 0x70                             // 000000002040: C0020840 00000070
	s_load_dword s34, s[0:1], 0x80                             // 000000002048: C0020880 00000080
	s_load_dword s35, s[0:1], 0x90                             // 000000002050: C00208C0 00000090
	s_load_dword s36, s[0:1], 0xa0                             // 000000002058: C0020900 000000A0
	s_load_dword s37, s[0:1], 0xb0                             // 000000002060: C0020940 000000B0
	s_load_dword s38, s[0:1], 0xc0                             // 000000002068: C0020980 000000C0
	v_lshrrev_b32_e32 v1, 10, v0                               // 000000002070: 2002008A
	v_lshrrev_b32_e32 v2, 10, v1                               // 000000002074: 2004028A
	v_and_b32_e32 v2, 0x3ff, v2                                // 000000002078: 260404FF 000003FF
	v_and_b32_e32 v1, 0x3ff, v1                                // 000000002080: 260202FF 000003FF
	v_and_b32_e32 v0, 0x3ff, v0                                // 000000002088: 260000FF 000003FF
	v_lshrrev_b32_e32 v3, 6, v0                                // 000000002090: 20060086
	v_and_b32_e32 v0, 63, v0                                   // 000000002094: 260000BF
	s_mov_b32 s41, s2                                          // 000000002098: BEA90002
	s_mov_b32 s42, s3                                          // 00000000209C: BEAA0003
	s_waitcnt lgkmcnt(0)                                       // 0000000020A0: BF8CC07F
	v_readfirstlane_b32 s44, v3                                // 0000000020A4: 7E580503
	s_mov_b32 s6, 0x80000000                                   // 0000000020A8: BE8600FF 80000000
	s_mov_b32 s10, 0x80000000                                  // 0000000020B0: BE8A00FF 80000000
	s_mov_b32 s22, 0x80000000                                  // 0000000020B8: BE9600FF 80000000
	s_mov_b32 s26, 0x80000000                                  // 0000000020C0: BE9A00FF 80000000
	s_mov_b32 s30, 0x80000000                                  // 0000000020C8: BE9E00FF 80000000
	s_mov_b32 s7, 0x20000                                      // 0000000020D0: BE8700FF 00020000
	s_mov_b32 s11, 0x20000                                     // 0000000020D8: BE8B00FF 00020000
	s_mov_b32 s23, 0x20000                                     // 0000000020E0: BE9700FF 00020000
	s_mov_b32 s27, 0x20000                                     // 0000000020E8: BE9B00FF 00020000
	s_mov_b32 s31, 0x20000                                     // 0000000020F0: BE9F00FF 00020000
	s_and_b32 s5, s5, 0xffff                                   // 0000000020F8: 8605FF05 0000FFFF
	s_and_b32 s9, s9, 0xffff                                   // 000000002100: 8609FF09 0000FFFF
	s_and_b32 s21, s21, 0xffff                                 // 000000002108: 8615FF15 0000FFFF
	s_and_b32 s25, s25, 0xffff                                 // 000000002110: 8619FF19 0000FFFF
	s_and_b32 s29, s29, 0xffff                                 // 000000002118: 861DFF1D 0000FFFF
	s_or_b32 s5, s5, 0x40000                                   // 000000002120: 8705FF05 00040000
	s_or_b32 s9, s9, 0x40000                                   // 000000002128: 8709FF09 00040000
	s_or_b32 s21, s21, 0x40000                                 // 000000002130: 8715FF15 00040000
	s_or_b32 s25, s25, 0x40000                                 // 000000002138: 8719FF19 00040000
	s_or_b32 s29, s29, 0x40000                                 // 000000002140: 871DFF1D 00040000
	s_mov_b32 s56, s41                                         // 000000002148: BEB80029
	s_mov_b32 s57, s38                                         // 00000000214C: BEB90026
	v_cvt_f32_u32_e32 v4, s57                                  // 000000002150: 7E080C39
	s_sub_i32 s47, 0, s57                                      // 000000002154: 81AF3980
	v_rcp_iflag_f32_e32 v4, v4                                 // 000000002158: 7E084704
	s_nop 0                                                    // 00000000215C: BF800000
	v_mul_f32_e32 v4, 0x4f7ffffe, v4                           // 000000002160: 0A0808FF 4F7FFFFE
	v_cvt_u32_f32_e32 v4, v4                                   // 000000002168: 7E080F04
	v_mul_lo_u32 v5, s47, v4                                   // 00000000216C: D2850005 0002082F
	v_mul_hi_u32 v5, v4, v5                                    // 000000002174: D2860005 00020B04
	v_add_u32_e32 v4, v4, v5                                   // 00000000217C: 68080B04
	v_mul_hi_u32 v4, s56, v4                                   // 000000002180: D2860004 00020838
	v_mul_lo_u32 v5, v4, s57                                   // 000000002188: D2850005 00007304
	v_sub_u32_e32 v7, s56, v5                                  // 000000002190: 6A0E0A38
	v_add_u32_e32 v6, 1, v4                                    // 000000002194: 680C0881
	v_cmp_le_u32_e32 vcc, s57, v7                              // 000000002198: 7D960E39
	v_subrev_u32_e32 v5, s57, v7                               // 00000000219C: 6C0A0E39
	s_nop 0                                                    // 0000000021A0: BF800000
	v_cndmask_b32_e32 v4, v4, v6, vcc                          // 0000000021A4: 00080D04
	v_cndmask_b32_e32 v7, v7, v5, vcc                          // 0000000021A8: 000E0B07
	v_add_u32_e32 v5, 1, v4                                    // 0000000021AC: 680A0881
	v_cmp_le_u32_e32 vcc, s57, v7                              // 0000000021B0: 7D960E39
	s_nop 1                                                    // 0000000021B4: BF800001
	v_cndmask_b32_e32 v7, v4, v5, vcc                          // 0000000021B8: 000E0B04
	s_nop 3                                                    // 0000000021BC: BF800003
	v_readfirstlane_b32 s58, v7                                // 0000000021C0: 7E740507
	s_nop 3                                                    // 0000000021C4: BF800003
	s_mov_b32 s41, s58                                         // 0000000021C8: BEA9003A
	s_mul_i32 s47, s41, s38                                    // 0000000021CC: 922F2629
	s_sub_u32 s75, s56, s47                                    // 0000000021D0: 80CB2F38
	s_mov_b32 s56, s34                                         // 0000000021D4: BEB80022
	s_mov_b32 s57, s38                                         // 0000000021D8: BEB90026
	v_cvt_f32_u32_e32 v4, s57                                  // 0000000021DC: 7E080C39
	s_sub_i32 s47, 0, s57                                      // 0000000021E0: 81AF3980
	v_rcp_iflag_f32_e32 v4, v4                                 // 0000000021E4: 7E084704
	s_nop 0                                                    // 0000000021E8: BF800000
	v_mul_f32_e32 v4, 0x4f7ffffe, v4                           // 0000000021EC: 0A0808FF 4F7FFFFE
	v_cvt_u32_f32_e32 v4, v4                                   // 0000000021F4: 7E080F04
	v_mul_lo_u32 v5, s47, v4                                   // 0000000021F8: D2850005 0002082F
	v_mul_hi_u32 v5, v4, v5                                    // 000000002200: D2860005 00020B04
	v_add_u32_e32 v4, v4, v5                                   // 000000002208: 68080B04
	v_mul_hi_u32 v4, s56, v4                                   // 00000000220C: D2860004 00020838
	v_mul_lo_u32 v5, v4, s57                                   // 000000002214: D2850005 00007304
	v_sub_u32_e32 v7, s56, v5                                  // 00000000221C: 6A0E0A38
	v_add_u32_e32 v6, 1, v4                                    // 000000002220: 680C0881
	v_cmp_le_u32_e32 vcc, s57, v7                              // 000000002224: 7D960E39
	v_subrev_u32_e32 v5, s57, v7                               // 000000002228: 6C0A0E39
	s_nop 0                                                    // 00000000222C: BF800000
	v_cndmask_b32_e32 v4, v4, v6, vcc                          // 000000002230: 00080D04
	v_cndmask_b32_e32 v7, v7, v5, vcc                          // 000000002234: 000E0B07
	v_add_u32_e32 v5, 1, v4                                    // 000000002238: 680A0881
	v_cmp_le_u32_e32 vcc, s57, v7                              // 00000000223C: 7D960E39
	s_nop 1                                                    // 000000002240: BF800001
	v_cndmask_b32_e32 v7, v4, v5, vcc                          // 000000002244: 000E0B04
	s_nop 3                                                    // 000000002248: BF800003
	v_readfirstlane_b32 s58, v7                                // 00000000224C: 7E740507
	s_nop 3                                                    // 000000002250: BF800003
	s_add_u32 s58, 0x7f, s58                                   // 000000002254: 803A3AFF 0000007F
	s_lshr_b32 s58, s58, 7                                     // 00000000225C: 8F3A873A
	s_lshl_b32 s76, s58, 7                                     // 000000002260: 8E4C873A
	s_mul_i32 s48, s76, s75                                    // 000000002264: 92304B4C
	s_sub_i32 s47, s34, s48                                    // 000000002268: 81AF3022
	s_cmp_lt_i32 s47, s76                                      // 00000000226C: BF044C2F
	s_cselect_b32 s34, s47, s76                                // 000000002270: 85224C2F
	s_mul_i32 s47, s42, 0xa0                                   // 000000002274: 922FFF2A 000000A0
	s_mul_i32 s48, s47, s37                                    // 00000000227C: 9230252F
	s_mul_hi_u32 s49, s47, s37                                 // 000000002280: 9631252F
	s_add_u32 s16, s16, s48                                    // 000000002284: 80103010
	s_addc_u32 s17, s17, s49                                   // 000000002288: 82113111
	s_mul_i32 s47, s41, 0x80                                   // 00000000228C: 922FFF29 00000080
	s_mul_i32 s48, s47, 2                                      // 000000002294: 9230822F
	s_mul_hi_u32 s49, s47, 2                                   // 000000002298: 9631822F
	s_add_u32 s16, s16, s48                                    // 00000000229C: 80103010
	s_addc_u32 s17, s17, s49                                   // 0000000022A0: 82113111
	s_mov_b32 s80, s16                                         // 0000000022A4: BED00010
	s_mov_b32 s81, s17                                         // 0000000022A8: BED10011
	s_mul_i32 s47, s42, 0xa0                                   // 0000000022AC: 922FFF2A 000000A0
	s_sub_i32 s48, s32, s47                                    // 0000000022B4: 81B02F20
	s_cmp_lt_u32 s48, 0xa0                                     // 0000000022B8: BF0AFF30 000000A0
	s_cselect_b32 s47, s48, 0xa0                               // 0000000022C0: 852FFF30 000000A0
	s_mul_i32 s48, s47, s37                                    // 0000000022C8: 9230252F
	s_mov_b32 s18, s48                                         // 0000000022CC: BE920030
	s_mov_b32 s82, 0x80000000                                  // 0000000022D0: BED200FF 80000000
	s_mov_b32 s19, 0x20000                                     // 0000000022D8: BE9300FF 00020000
	s_and_b32 s17, s17, 0xffff                                 // 0000000022E0: 8611FF11 0000FFFF
	s_and_b32 s81, s81, 0xffff                                 // 0000000022E8: 8651FF51 0000FFFF
	s_or_b32 s17, s17, 0x40000                                 // 0000000022F0: 8711FF11 00040000
	s_mov_b32 s45, 0x7060302                                   // 0000000022F8: BEAD00FF 07060302
	v_mov_b32_e32 v13, 0xffff0000                              // 000000002300: 7E1A02FF FFFF0000
	v_mov_b32_e32 v14, 0x7fff0000                              // 000000002308: 7E1C02FF 7FFF0000
	v_mov_b32_e32 v15, 0x7fff                                  // 000000002310: 7E1E02FF 00007FFF
	s_mul_i32 s47, 0x80, s41                                   // 000000002318: 922F29FF 00000080
	s_mul_hi_u32 s48, 4, s47                                   // 000000002320: 96302F84
	s_add_u32 s29, s29, s48                                    // 000000002324: 801D301D
	s_mul_i32 s48, 4, s47                                      // 000000002328: 92302F84
	s_add_u32 s28, s28, s48                                    // 00000000232C: 801C301C
	s_addc_u32 s29, s29, 0                                     // 000000002330: 821D801D
	s_sub_i32 s48, s33, s47                                    // 000000002334: 81B02F21
	s_cmp_lt_u32 s48, 0x80                                     // 000000002338: BF0AFF30 00000080
	s_cselect_b32 s47, s48, 0x80                               // 000000002340: 852FFF30 00000080
	s_mul_i32 s48, 4, s47                                      // 000000002348: 92302F84
	s_mov_b32 s30, s48                                         // 00000000234C: BE9E0030
	s_mov_b32 s31, 0x20000                                     // 000000002350: BE9F00FF 00020000
	v_lshrrev_b32_e32 v4, 4, v0                                // 000000002358: 20080084
	v_lshlrev_b32_e32 v4, 4, v4                                // 00000000235C: 24080884
	s_mul_i32 s49, s44, 0x80                                   // 000000002360: 9231FF2C 00000080
	v_add_u32_e64 v218, v4, s49                                // 000000002368: D13400DA 00006304
	v_add_u32_e64 v219, v218, 64                               // 000000002370: D13400DB 000181DA
	buffer_load_dwordx4 v[220:223], v218, s[28:31], 0 offen    // 000000002378: E05C1000 8007DCDA
	buffer_load_dwordx4 v[224:227], v219, s[28:31], 0 offen    // 000000002380: E05C1000 8007E0DB
	s_mul_i32 s47, 0xa0, s42                                   // 000000002388: 922F2AFF 000000A0
	s_mul_hi_u32 s48, 4, s47                                   // 000000002390: 96302F84
	s_add_u32 s21, s21, s48                                    // 000000002394: 80153015
	s_mul_i32 s48, 4, s47                                      // 000000002398: 92302F84
	s_add_u32 s20, s20, s48                                    // 00000000239C: 80143014
	s_addc_u32 s21, s21, 0                                     // 0000000023A0: 82158015
	s_sub_i32 s48, s32, s47                                    // 0000000023A4: 81B02F20
	s_cmp_lt_u32 s48, 0xa0                                     // 0000000023A8: BF0AFF30 000000A0
	s_cselect_b32 s47, s48, 0xa0                               // 0000000023B0: 852FFF30 000000A0
	s_mul_i32 s48, 4, s47                                      // 0000000023B8: 92302F84
	s_mov_b32 s22, s48                                         // 0000000023BC: BE960030
	s_mov_b32 s23, 0x20000                                     // 0000000023C0: BE9700FF 00020000
	v_and_b32_e64 v214, v0, 15                                 // 0000000023C8: D11300D6 00011F00
	v_lshlrev_b32_e32 v214, 2, v214                            // 0000000023D0: 25ADAC82
	buffer_load_dword v186, v214, s[20:23], 0 offen            // 0000000023D4: E0501000 8005BAD6
	buffer_load_dword v187, v214, s[20:23], 0 offen offset:64  // 0000000023DC: E0501040 8005BBD6
	buffer_load_dword v188, v214, s[20:23], 0 offen offset:128 // 0000000023E4: E0501080 8005BCD6
	buffer_load_dword v189, v214, s[20:23], 0 offen offset:192 // 0000000023EC: E05010C0 8005BDD6
	buffer_load_dword v190, v214, s[20:23], 0 offen offset:256 // 0000000023F4: E0501100 8005BED6
	buffer_load_dword v191, v214, s[20:23], 0 offen offset:320 // 0000000023FC: E0501140 8005BFD6
	buffer_load_dword v192, v214, s[20:23], 0 offen offset:384 // 000000002404: E0501180 8005C0D6
	buffer_load_dword v193, v214, s[20:23], 0 offen offset:448 // 00000000240C: E05011C0 8005C1D6
	buffer_load_dword v194, v214, s[20:23], 0 offen offset:512 // 000000002414: E0501200 8005C2D6
	buffer_load_dword v195, v214, s[20:23], 0 offen offset:576 // 00000000241C: E0501240 8005C3D6
	s_mul_i32 s47, 0x80, s41                                   // 000000002424: 922F29FF 00000080
	s_mul_hi_u32 s48, 4, s47                                   // 00000000242C: 96302F84
	s_add_u32 s25, s25, s48                                    // 000000002430: 80193019
	s_mul_i32 s48, 4, s47                                      // 000000002434: 92302F84
	s_add_u32 s24, s24, s48                                    // 000000002438: 80183018
	s_addc_u32 s25, s25, 0                                     // 00000000243C: 82198019
	s_sub_i32 s48, s33, s47                                    // 000000002440: 81B02F21
	s_cmp_lt_u32 s48, 0x80                                     // 000000002444: BF0AFF30 00000080
	s_cselect_b32 s47, s48, 0x80                               // 00000000244C: 852FFF30 00000080
	s_mul_i32 s48, 4, s47                                      // 000000002454: 92302F84
	s_mov_b32 s26, s48                                         // 000000002458: BE9A0030
	s_mov_b32 s27, 0x20000                                     // 00000000245C: BE9B00FF 00020000
	v_lshrrev_b32_e32 v4, 4, v0                                // 000000002464: 20080084
	v_lshlrev_b32_e32 v4, 4, v4                                // 000000002468: 24080884
	s_mul_i32 s49, s44, 0x80                                   // 00000000246C: 9231FF2C 00000080
	v_add_u32_e64 v216, v4, s49                                // 000000002474: D13400D8 00006304
	v_add_u32_e64 v217, v216, 64                               // 00000000247C: D13400D9 000181D8
	buffer_load_dwordx4 v[206:209], v216, s[24:27], 0 offen    // 000000002484: E05C1000 8006CED8
	buffer_load_dwordx4 v[210:213], v217, s[24:27], 0 offen    // 00000000248C: E05C1000 8006D2D9
	v_lshrrev_b32_e32 v4, 5, v0                                // 000000002494: 20080085
	v_lshlrev_b32_e32 v4, 2, v4                                // 000000002498: 24080882
	v_mul_i32_i24_e32 v4, s35, v4                              // 00000000249C: 0C080823
	v_and_b32_e32 v38, 31, v0                                  // 0000000024A0: 264C009F
	v_lshlrev_b32_e32 v38, 2, v38                              // 0000000024A4: 244C4C82
	s_mul_i32 s47, 0xa0, s42                                   // 0000000024A8: 922F2AFF 000000A0
	s_sub_i32 s48, s32, s47                                    // 0000000024B0: 81B02F20
	s_cmp_lt_u32 s48, 0xa0                                     // 0000000024B4: BF0AFF30 000000A0
	s_cselect_b32 s48, s48, 0xa0                               // 0000000024BC: 8530FF30 000000A0
	s_mul_i32 s49, s35, s47                                    // 0000000024C4: 92312F23
	s_mul_hi_u32 s47, s35, s47                                 // 0000000024C8: 962F2F23
	s_add_u32 s4, s4, s49                                      // 0000000024CC: 80043104
	s_addc_u32 s5, s5, s47                                     // 0000000024D0: 82052F05
	s_mul_i32 s47, s35, s48                                    // 0000000024D4: 922F3023
	s_mov_b32 s6, s47                                          // 0000000024D8: BE86002F
	s_mov_b32 s7, 0x20000                                      // 0000000024DC: BE8700FF 00020000
	s_mul_i32 s48, s76, s75                                    // 0000000024E4: 92304B4C
	s_add_u32 s4, s48, s4                                      // 0000000024E8: 80040430
	s_addc_u32 s5, 0, s5                                       // 0000000024EC: 82050580
	s_sub_u32 s6, s6, s48                                      // 0000000024F0: 80863006
	s_mul_i32 s47, s35, s44                                    // 0000000024F4: 922F2C23
	v_add3_u32 v38, v4, v38, s47                               // 0000000024F8: D1FF0026 00BE4D04
	s_lshl_b32 s47, s35, 3                                     // 000000002500: 8E2F8323
	v_add_u32_e32 v39, s47, v38                                // 000000002504: 684E4C2F
	v_add_u32_e32 v40, s47, v39                                // 000000002508: 68504E2F
	v_add_u32_e32 v41, s47, v40                                // 00000000250C: 6852502F
	v_add_u32_e32 v42, s47, v41                                // 000000002510: 6854522F
	v_add_u32_e32 v43, s47, v42                                // 000000002514: 6856542F
	v_add_u32_e32 v44, s47, v43                                // 000000002518: 6858562F
	v_add_u32_e32 v45, s47, v44                                // 00000000251C: 685A582F
	v_add_u32_e32 v46, s47, v45                                // 000000002520: 685C5A2F
	v_add_u32_e32 v47, s47, v46                                // 000000002524: 685E5C2F
	v_add_u32_e32 v48, s47, v47                                // 000000002528: 68605E2F
	v_add_u32_e32 v49, s47, v48                                // 00000000252C: 6862602F
	v_add_u32_e32 v50, s47, v49                                // 000000002530: 6864622F
	v_add_u32_e32 v51, s47, v50                                // 000000002534: 6866642F
	v_add_u32_e32 v52, s47, v51                                // 000000002538: 6868662F
	v_add_u32_e32 v53, s47, v52                                // 00000000253C: 686A682F
	v_add_u32_e32 v54, s47, v53                                // 000000002540: 686C6A2F
	v_add_u32_e32 v55, s47, v54                                // 000000002544: 686E6C2F
	v_add_u32_e32 v56, s47, v55                                // 000000002548: 68706E2F
	v_add_u32_e32 v57, s47, v56                                // 00000000254C: 6872702F
	s_mov_b32 s51, 0x80                                        // 000000002550: BEB300FF 00000080
	s_mov_b32 s47, 0xa0                                        // 000000002558: BEAF00FF 000000A0
	s_lshr_b32 s47, s47, 2                                     // 000000002560: 8F2F822F
	s_mul_i32 s47, s47, 32                                     // 000000002564: 922FA02F
	s_mov_b32 s48, 8                                           // 000000002568: BEB00088
	s_add_u32 s47, s47, s48                                    // 00000000256C: 802F302F
	v_lshrrev_b32_e32 v4, 4, v0                                // 000000002570: 20080084
	v_and_b32_e32 v5, 15, v0                                   // 000000002574: 260A008F
	v_and_b32_e32 v6, 3, v5                                    // 000000002578: 260C0A83
	v_lshrrev_b32_e32 v7, 2, v5                                // 00000000257C: 200E0A82
	v_lshlrev_b32_e32 v4, 2, v4                                // 000000002580: 24080882
	v_mul_lo_u32 v6, v6, s47                                   // 000000002584: D2850006 00005F06
	v_lshlrev_b32_e32 v7, 5, v7                                // 00000000258C: 240E0E85
	v_add_u32_e32 v4, v4, v6                                   // 000000002590: 68080D04
	v_add_u32_e32 v4, v4, v7                                   // 000000002594: 68080F04
	v_lshlrev_b32_e32 v58, 2, v4                               // 000000002598: 24740882
	s_mul_i32 s47, 0x1420, s44                                 // 00000000259C: 922F2CFF 00001420
	s_add_u32 s53, 0, s47                                      // 0000000025A4: 80352F80
	s_add_u32 s54, 0x5080, s53                                 // 0000000025A8: 803635FF 00005080
	s_add_u32 s55, 0x5080, s54                                 // 0000000025B0: 803736FF 00005080
	s_mov_b32 s52, 0x800                                       // 0000000025B8: BEB400FF 00000800
	s_mul_i32 s46, 0x80, s41                                   // 0000000025C0: 922E29FF 00000080
	s_sub_i32 s48, s33, s46                                    // 0000000025C8: 81B02E21
	s_cmp_lt_u32 s48, 0x80                                     // 0000000025CC: BF0AFF30 00000080
	s_cselect_b32 s47, s48, 0x80                               // 0000000025D4: 852FFF30 00000080
	s_mul_i32 s48, s36, s46                                    // 0000000025DC: 92302E24
	s_mul_hi_u32 s49, s36, s46                                 // 0000000025E0: 96312E24
	s_add_u32 s8, s8, s48                                      // 0000000025E4: 80083008
	s_addc_u32 s9, s9, s49                                     // 0000000025E8: 82093109
	s_mul_i32 s48, s36, s47                                    // 0000000025EC: 92302F24
	s_mov_b32 s10, s48                                         // 0000000025F0: BE8A0030
	s_mov_b32 s11, 0x20000                                     // 0000000025F4: BE8B00FF 00020000
	s_lshr_b32 s48, s76, 7                                     // 0000000025FC: 8F30874C
	s_mul_i32 s47, s52, s75                                    // 000000002600: 922F4B34
	s_mul_i32 s47, s48, s47                                    // 000000002604: 922F2F30
	s_add_u32 s8, s47, s8                                      // 000000002608: 8008082F
	s_addc_u32 s9, 0, s9                                       // 00000000260C: 82090980
	s_sub_u32 s10, s10, s47                                    // 000000002610: 808A2F0A
	s_lshl_b32 s47, s44, 5                                     // 000000002614: 8E2F852C
	s_mul_i32 s47, s36, s47                                    // 000000002618: 922F2F24
	v_lshlrev_b32_e32 v60, 4, v0                               // 00000000261C: 24780084
	v_add_u32_e32 v60, s47, v60                                // 000000002620: 6878782F
	s_mov_b32 s47, 0x400                                       // 000000002624: BEAF00FF 00000400
	v_add_u32_e64 v61, v60, s47                                // 00000000262C: D134003D 00005F3C
	s_mul_i32 s47, s36, 16                                     // 000000002634: 922F9024
	v_add_u32_e64 v62, v60, s47                                // 000000002638: D134003E 00005F3C
	v_add_u32_e64 v63, v61, s47                                // 000000002640: D134003F 00005F3D
	s_add_u32 m0, 0, s53                                       // 000000002648: 807C3580
	buffer_load_dword v38, s[4:7], 0 offen lds                 // 00000000264C: E0511000 80010026
	s_add_u32 m0, 0x100, s53                                   // 000000002654: 807C35FF 00000100
	buffer_load_dword v39, s[4:7], 0 offen lds                 // 00000000265C: E0511000 80010027
	s_add_u32 m0, 0x200, s53                                   // 000000002664: 807C35FF 00000200
	buffer_load_dword v40, s[4:7], 0 offen lds                 // 00000000266C: E0511000 80010028
	s_add_u32 m0, 0x300, s53                                   // 000000002674: 807C35FF 00000300
	buffer_load_dword v41, s[4:7], 0 offen lds                 // 00000000267C: E0511000 80010029
	s_add_u32 m0, 0x400, s53                                   // 000000002684: 807C35FF 00000400
	buffer_load_dword v42, s[4:7], 0 offen lds                 // 00000000268C: E0511000 8001002A
	s_add_u32 m0, 0x500, s53                                   // 000000002694: 807C35FF 00000500
	buffer_load_dword v43, s[4:7], 0 offen lds                 // 00000000269C: E0511000 8001002B
	s_add_u32 m0, 0x600, s53                                   // 0000000026A4: 807C35FF 00000600
	buffer_load_dword v44, s[4:7], 0 offen lds                 // 0000000026AC: E0511000 8001002C
	s_add_u32 m0, 0x700, s53                                   // 0000000026B4: 807C35FF 00000700
	buffer_load_dword v45, s[4:7], 0 offen lds                 // 0000000026BC: E0511000 8001002D
	s_add_u32 m0, 0x800, s53                                   // 0000000026C4: 807C35FF 00000800
	buffer_load_dword v46, s[4:7], 0 offen lds                 // 0000000026CC: E0511000 8001002E
	s_add_u32 m0, 0x900, s53                                   // 0000000026D4: 807C35FF 00000900
	buffer_load_dword v47, s[4:7], 0 offen lds                 // 0000000026DC: E0511000 8001002F
	s_add_u32 m0, 0xa00, s53                                   // 0000000026E4: 807C35FF 00000A00
	buffer_load_dword v48, s[4:7], 0 offen lds                 // 0000000026EC: E0511000 80010030
	s_add_u32 m0, 0xb00, s53                                   // 0000000026F4: 807C35FF 00000B00
	buffer_load_dword v49, s[4:7], 0 offen lds                 // 0000000026FC: E0511000 80010031
	s_add_u32 m0, 0xc00, s53                                   // 000000002704: 807C35FF 00000C00
	buffer_load_dword v50, s[4:7], 0 offen lds                 // 00000000270C: E0511000 80010032
	s_add_u32 m0, 0xd00, s53                                   // 000000002714: 807C35FF 00000D00
	buffer_load_dword v51, s[4:7], 0 offen lds                 // 00000000271C: E0511000 80010033
	s_add_u32 m0, 0xe00, s53                                   // 000000002724: 807C35FF 00000E00
	buffer_load_dword v52, s[4:7], 0 offen lds                 // 00000000272C: E0511000 80010034
	s_add_u32 m0, 0xf00, s53                                   // 000000002734: 807C35FF 00000F00
	buffer_load_dword v53, s[4:7], 0 offen lds                 // 00000000273C: E0511000 80010035
	s_add_u32 m0, 0x1000, s53                                  // 000000002744: 807C35FF 00001000
	buffer_load_dword v54, s[4:7], 0 offen lds                 // 00000000274C: E0511000 80010036
	s_add_u32 m0, 0x1100, s53                                  // 000000002754: 807C35FF 00001100
	buffer_load_dword v55, s[4:7], 0 offen lds                 // 00000000275C: E0511000 80010037
	s_add_u32 m0, 0x1200, s53                                  // 000000002764: 807C35FF 00001200
	buffer_load_dword v56, s[4:7], 0 offen lds                 // 00000000276C: E0511000 80010038
	s_add_u32 m0, 0x1300, s53                                  // 000000002774: 807C35FF 00001300
	buffer_load_dword v57, s[4:7], 0 offen lds                 // 00000000277C: E0511000 80010039
	s_mov_b32 s50, 0                                           // 000000002784: BEB20080
	s_add_u32 s47, 0x80, s50                                   // 000000002788: 802F32FF 00000080
	s_cmp_lt_u32 s47, s34                                      // 000000002790: BF0A222F
	s_cselect_b32 s51, s51, 0                                  // 000000002794: 85338033
	s_add_u32 s4, s51, s4                                      // 000000002798: 80040433
	s_addc_u32 s5, 0, s5                                       // 00000000279C: 82050580
	s_sub_u32 s6, s6, s51                                      // 0000000027A0: 80863306
	v_mov_b32_e32 v66, 0                                       // 0000000027A4: 7E840280
	v_mov_b32_e32 v67, 0                                       // 0000000027A8: 7E860280
	v_mov_b32_e32 v68, 0                                       // 0000000027AC: 7E880280
	v_mov_b32_e32 v69, 0                                       // 0000000027B0: 7E8A0280
	v_mov_b32_e32 v70, 0                                       // 0000000027B4: 7E8C0280
	v_mov_b32_e32 v71, 0                                       // 0000000027B8: 7E8E0280
	v_mov_b32_e32 v72, 0                                       // 0000000027BC: 7E900280
	v_mov_b32_e32 v73, 0                                       // 0000000027C0: 7E920280
	buffer_load_dwordx4 a[0:3], v60, s[8:11], 0 offen          // 0000000027C4: E05C1000 8082003C
	buffer_load_dwordx4 a[4:7], v61, s[8:11], 0 offen          // 0000000027CC: E05C1000 8082043D
	buffer_load_dwordx4 a[8:11], v62, s[8:11], 0 offen         // 0000000027D4: E05C1000 8082083E
	buffer_load_dwordx4 a[12:15], v63, s[8:11], 0 offen        // 0000000027DC: E05C1000 80820C3F
	s_mov_b32 s50, 0                                           // 0000000027E4: BEB20080
	s_add_u32 s47, 0x80, s50                                   // 0000000027E8: 802F32FF 00000080
	s_cmp_lt_u32 s47, s34                                      // 0000000027F0: BF0A222F
	s_cselect_b32 s52, s52, 0                                  // 0000000027F4: 85348034
	s_add_u32 s8, s52, s8                                      // 0000000027F8: 80080834
	s_addc_u32 s9, 0, s9                                       // 0000000027FC: 82090980
	s_sub_u32 s10, s10, s52                                    // 000000002800: 808A340A
	s_add_u32 m0, 0, s54                                       // 000000002804: 807C3680
	buffer_load_dword v38, s[4:7], 0 offen lds                 // 000000002808: E0511000 80010026
	s_add_u32 m0, 0x100, s54                                   // 000000002810: 807C36FF 00000100
	buffer_load_dword v39, s[4:7], 0 offen lds                 // 000000002818: E0511000 80010027
	s_add_u32 m0, 0x200, s54                                   // 000000002820: 807C36FF 00000200
	;; [unrolled: 2-line block ×4, first 2 shown]
	buffer_load_dword v42, s[4:7], 0 offen lds                 // 000000002848: E0511000 8001002A
	s_add_u32 m0, 0x500, s54                                   // 000000002850: 807C36FF 00000500
	buffer_load_dword v43, s[4:7], 0 offen lds                 // 000000002858: E0511000 8001002B
	s_add_u32 m0, 0x600, s54                                   // 000000002860: 807C36FF 00000600
	buffer_load_dword v44, s[4:7], 0 offen lds                 // 000000002868: E0511000 8001002C
	s_add_u32 m0, 0x700, s54                                   // 000000002870: 807C36FF 00000700
	buffer_load_dword v45, s[4:7], 0 offen lds                 // 000000002878: E0511000 8001002D
	s_add_u32 m0, 0x800, s54                                   // 000000002880: 807C36FF 00000800
	buffer_load_dword v46, s[4:7], 0 offen lds                 // 000000002888: E0511000 8001002E
	s_add_u32 m0, 0x900, s54                                   // 000000002890: 807C36FF 00000900
	buffer_load_dword v47, s[4:7], 0 offen lds                 // 000000002898: E0511000 8001002F
	s_add_u32 m0, 0xa00, s54                                   // 0000000028A0: 807C36FF 00000A00
	buffer_load_dword v48, s[4:7], 0 offen lds                 // 0000000028A8: E0511000 80010030
	s_add_u32 m0, 0xb00, s54                                   // 0000000028B0: 807C36FF 00000B00
	buffer_load_dword v49, s[4:7], 0 offen lds                 // 0000000028B8: E0511000 80010031
	s_add_u32 m0, 0xc00, s54                                   // 0000000028C0: 807C36FF 00000C00
	buffer_load_dword v50, s[4:7], 0 offen lds                 // 0000000028C8: E0511000 80010032
	s_add_u32 m0, 0xd00, s54                                   // 0000000028D0: 807C36FF 00000D00
	buffer_load_dword v51, s[4:7], 0 offen lds                 // 0000000028D8: E0511000 80010033
	s_add_u32 m0, 0xe00, s54                                   // 0000000028E0: 807C36FF 00000E00
	buffer_load_dword v52, s[4:7], 0 offen lds                 // 0000000028E8: E0511000 80010034
	s_add_u32 m0, 0xf00, s54                                   // 0000000028F0: 807C36FF 00000F00
	buffer_load_dword v53, s[4:7], 0 offen lds                 // 0000000028F8: E0511000 80010035
	s_add_u32 m0, 0x1000, s54                                  // 000000002900: 807C36FF 00001000
	buffer_load_dword v54, s[4:7], 0 offen lds                 // 000000002908: E0511000 80010036
	s_add_u32 m0, 0x1100, s54                                  // 000000002910: 807C36FF 00001100
	buffer_load_dword v55, s[4:7], 0 offen lds                 // 000000002918: E0511000 80010037
	;; [unrolled: 2-line block ×4, first 2 shown]
	s_mov_b32 s50, 0x80                                        // 000000002940: BEB200FF 00000080
	s_add_u32 s47, 0x80, s50                                   // 000000002948: 802F32FF 00000080
	s_cmp_lt_u32 s47, s34                                      // 000000002950: BF0A222F
	s_cselect_b32 s51, s51, 0                                  // 000000002954: 85338033
	s_add_u32 s4, s51, s4                                      // 000000002958: 80040433
	s_addc_u32 s5, 0, s5                                       // 00000000295C: 82050580
	s_sub_u32 s6, s6, s51                                      // 000000002960: 80863306
	v_mov_b32_e32 v74, 0                                       // 000000002964: 7E940280
	v_mov_b32_e32 v75, 0                                       // 000000002968: 7E960280
	v_mov_b32_e32 v76, 0                                       // 00000000296C: 7E980280
	v_mov_b32_e32 v77, 0                                       // 000000002970: 7E9A0280
	v_mov_b32_e32 v78, 0                                       // 000000002974: 7E9C0280
	v_mov_b32_e32 v79, 0                                       // 000000002978: 7E9E0280
	v_mov_b32_e32 v80, 0                                       // 00000000297C: 7EA00280
	v_mov_b32_e32 v81, 0                                       // 000000002980: 7EA20280
	buffer_load_dwordx4 a[16:19], v60, s[8:11], 0 offen        // 000000002984: E05C1000 8082103C
	buffer_load_dwordx4 a[20:23], v61, s[8:11], 0 offen        // 00000000298C: E05C1000 8082143D
	buffer_load_dwordx4 a[24:27], v62, s[8:11], 0 offen        // 000000002994: E05C1000 8082183E
	buffer_load_dwordx4 a[28:31], v63, s[8:11], 0 offen        // 00000000299C: E05C1000 80821C3F
	s_mov_b32 s50, 0x80                                        // 0000000029A4: BEB200FF 00000080
	s_add_u32 s47, 0x80, s50                                   // 0000000029AC: 802F32FF 00000080
	s_cmp_lt_u32 s47, s34                                      // 0000000029B4: BF0A222F
	s_cselect_b32 s52, s52, 0                                  // 0000000029B8: 85348034
	s_add_u32 s8, s52, s8                                      // 0000000029BC: 80080834
	s_addc_u32 s9, 0, s9                                       // 0000000029C0: 82090980
	s_sub_u32 s10, s10, s52                                    // 0000000029C4: 808A340A
	s_add_u32 m0, 0, s55                                       // 0000000029C8: 807C3780
	buffer_load_dword v38, s[4:7], 0 offen lds                 // 0000000029CC: E0511000 80010026
	s_add_u32 m0, 0x100, s55                                   // 0000000029D4: 807C37FF 00000100
	buffer_load_dword v39, s[4:7], 0 offen lds                 // 0000000029DC: E0511000 80010027
	s_add_u32 m0, 0x200, s55                                   // 0000000029E4: 807C37FF 00000200
	buffer_load_dword v40, s[4:7], 0 offen lds                 // 0000000029EC: E0511000 80010028
	s_add_u32 m0, 0x300, s55                                   // 0000000029F4: 807C37FF 00000300
	buffer_load_dword v41, s[4:7], 0 offen lds                 // 0000000029FC: E0511000 80010029
	s_add_u32 m0, 0x400, s55                                   // 000000002A04: 807C37FF 00000400
	buffer_load_dword v42, s[4:7], 0 offen lds                 // 000000002A0C: E0511000 8001002A
	s_add_u32 m0, 0x500, s55                                   // 000000002A14: 807C37FF 00000500
	buffer_load_dword v43, s[4:7], 0 offen lds                 // 000000002A1C: E0511000 8001002B
	s_add_u32 m0, 0x600, s55                                   // 000000002A24: 807C37FF 00000600
	buffer_load_dword v44, s[4:7], 0 offen lds                 // 000000002A2C: E0511000 8001002C
	s_add_u32 m0, 0x700, s55                                   // 000000002A34: 807C37FF 00000700
	buffer_load_dword v45, s[4:7], 0 offen lds                 // 000000002A3C: E0511000 8001002D
	s_add_u32 m0, 0x800, s55                                   // 000000002A44: 807C37FF 00000800
	buffer_load_dword v46, s[4:7], 0 offen lds                 // 000000002A4C: E0511000 8001002E
	s_add_u32 m0, 0x900, s55                                   // 000000002A54: 807C37FF 00000900
	buffer_load_dword v47, s[4:7], 0 offen lds                 // 000000002A5C: E0511000 8001002F
	s_add_u32 m0, 0xa00, s55                                   // 000000002A64: 807C37FF 00000A00
	buffer_load_dword v48, s[4:7], 0 offen lds                 // 000000002A6C: E0511000 80010030
	s_add_u32 m0, 0xb00, s55                                   // 000000002A74: 807C37FF 00000B00
	buffer_load_dword v49, s[4:7], 0 offen lds                 // 000000002A7C: E0511000 80010031
	s_add_u32 m0, 0xc00, s55                                   // 000000002A84: 807C37FF 00000C00
	buffer_load_dword v50, s[4:7], 0 offen lds                 // 000000002A8C: E0511000 80010032
	s_add_u32 m0, 0xd00, s55                                   // 000000002A94: 807C37FF 00000D00
	buffer_load_dword v51, s[4:7], 0 offen lds                 // 000000002A9C: E0511000 80010033
	s_add_u32 m0, 0xe00, s55                                   // 000000002AA4: 807C37FF 00000E00
	buffer_load_dword v52, s[4:7], 0 offen lds                 // 000000002AAC: E0511000 80010034
	s_add_u32 m0, 0xf00, s55                                   // 000000002AB4: 807C37FF 00000F00
	buffer_load_dword v53, s[4:7], 0 offen lds                 // 000000002ABC: E0511000 80010035
	s_add_u32 m0, 0x1000, s55                                  // 000000002AC4: 807C37FF 00001000
	buffer_load_dword v54, s[4:7], 0 offen lds                 // 000000002ACC: E0511000 80010036
	s_add_u32 m0, 0x1100, s55                                  // 000000002AD4: 807C37FF 00001100
	buffer_load_dword v55, s[4:7], 0 offen lds                 // 000000002ADC: E0511000 80010037
	s_add_u32 m0, 0x1200, s55                                  // 000000002AE4: 807C37FF 00001200
	buffer_load_dword v56, s[4:7], 0 offen lds                 // 000000002AEC: E0511000 80010038
	s_add_u32 m0, 0x1300, s55                                  // 000000002AF4: 807C37FF 00001300
	buffer_load_dword v57, s[4:7], 0 offen lds                 // 000000002AFC: E0511000 80010039
	s_mov_b32 s50, 0x100                                       // 000000002B04: BEB200FF 00000100
	s_add_u32 s47, 0x80, s50                                   // 000000002B0C: 802F32FF 00000080
	s_cmp_lt_u32 s47, s34                                      // 000000002B14: BF0A222F
	s_cselect_b32 s51, s51, 0                                  // 000000002B18: 85338033
	s_add_u32 s4, s51, s4                                      // 000000002B1C: 80040433
	s_addc_u32 s5, 0, s5                                       // 000000002B20: 82050580
	s_sub_u32 s6, s6, s51                                      // 000000002B24: 80863306
	v_mov_b32_e32 v82, 0                                       // 000000002B28: 7EA40280
	v_mov_b32_e32 v83, 0                                       // 000000002B2C: 7EA60280
	v_mov_b32_e32 v84, 0                                       // 000000002B30: 7EA80280
	v_mov_b32_e32 v85, 0                                       // 000000002B34: 7EAA0280
	v_mov_b32_e32 v86, 0                                       // 000000002B38: 7EAC0280
	v_mov_b32_e32 v87, 0                                       // 000000002B3C: 7EAE0280
	v_mov_b32_e32 v88, 0                                       // 000000002B40: 7EB00280
	v_mov_b32_e32 v89, 0                                       // 000000002B44: 7EB20280
	v_mov_b32_e32 v90, 0                                       // 000000002B48: 7EB40280
	v_mov_b32_e32 v91, 0                                       // 000000002B4C: 7EB60280
	v_mov_b32_e32 v92, 0                                       // 000000002B50: 7EB80280
	v_mov_b32_e32 v93, 0                                       // 000000002B54: 7EBA0280
	v_mov_b32_e32 v94, 0                                       // 000000002B58: 7EBC0280
	v_mov_b32_e32 v95, 0                                       // 000000002B5C: 7EBE0280
	v_mov_b32_e32 v96, 0                                       // 000000002B60: 7EC00280
	v_mov_b32_e32 v97, 0                                       // 000000002B64: 7EC20280
	v_mov_b32_e32 v98, 0                                       // 000000002B68: 7EC40280
	v_mov_b32_e32 v99, 0                                       // 000000002B6C: 7EC60280
	v_mov_b32_e32 v100, 0                                      // 000000002B70: 7EC80280
	v_mov_b32_e32 v101, 0                                      // 000000002B74: 7ECA0280
	v_mov_b32_e32 v102, 0                                      // 000000002B78: 7ECC0280
	v_mov_b32_e32 v103, 0                                      // 000000002B7C: 7ECE0280
	v_mov_b32_e32 v104, 0                                      // 000000002B80: 7ED00280
	v_mov_b32_e32 v105, 0                                      // 000000002B84: 7ED20280
	v_mov_b32_e32 v106, 0                                      // 000000002B88: 7ED40280
	v_mov_b32_e32 v107, 0                                      // 000000002B8C: 7ED60280
	v_mov_b32_e32 v108, 0                                      // 000000002B90: 7ED80280
	v_mov_b32_e32 v109, 0                                      // 000000002B94: 7EDA0280
	v_mov_b32_e32 v110, 0                                      // 000000002B98: 7EDC0280
	v_mov_b32_e32 v111, 0                                      // 000000002B9C: 7EDE0280
	v_mov_b32_e32 v112, 0                                      // 000000002BA0: 7EE00280
	v_mov_b32_e32 v113, 0                                      // 000000002BA4: 7EE20280
	v_mov_b32_e32 v114, 0                                      // 000000002BA8: 7EE40280
	v_mov_b32_e32 v115, 0                                      // 000000002BAC: 7EE60280
	v_mov_b32_e32 v116, 0                                      // 000000002BB0: 7EE80280
	v_mov_b32_e32 v117, 0                                      // 000000002BB4: 7EEA0280
	v_mov_b32_e32 v118, 0                                      // 000000002BB8: 7EEC0280
	v_mov_b32_e32 v119, 0                                      // 000000002BBC: 7EEE0280
	v_mov_b32_e32 v120, 0                                      // 000000002BC0: 7EF00280
	v_mov_b32_e32 v121, 0                                      // 000000002BC4: 7EF20280
	v_mov_b32_e32 v122, 0                                      // 000000002BC8: 7EF40280
	v_mov_b32_e32 v123, 0                                      // 000000002BCC: 7EF60280
	v_mov_b32_e32 v124, 0                                      // 000000002BD0: 7EF80280
	v_mov_b32_e32 v125, 0                                      // 000000002BD4: 7EFA0280
	v_mov_b32_e32 v126, 0                                      // 000000002BD8: 7EFC0280
	v_mov_b32_e32 v127, 0                                      // 000000002BDC: 7EFE0280
	v_mov_b32_e32 v128, 0                                      // 000000002BE0: 7F000280
	v_mov_b32_e32 v129, 0                                      // 000000002BE4: 7F020280
	v_mov_b32_e32 v130, 0                                      // 000000002BE8: 7F040280
	v_mov_b32_e32 v131, 0                                      // 000000002BEC: 7F060280
	v_mov_b32_e32 v132, 0                                      // 000000002BF0: 7F080280
	v_mov_b32_e32 v133, 0                                      // 000000002BF4: 7F0A0280
	v_mov_b32_e32 v134, 0                                      // 000000002BF8: 7F0C0280
	v_mov_b32_e32 v135, 0                                      // 000000002BFC: 7F0E0280
	v_mov_b32_e32 v136, 0                                      // 000000002C00: 7F100280
	v_mov_b32_e32 v137, 0                                      // 000000002C04: 7F120280
	v_mov_b32_e32 v138, 0                                      // 000000002C08: 7F140280
	v_mov_b32_e32 v139, 0                                      // 000000002C0C: 7F160280
	v_mov_b32_e32 v140, 0                                      // 000000002C10: 7F180280
	v_mov_b32_e32 v141, 0                                      // 000000002C14: 7F1A0280
	v_mov_b32_e32 v142, 0                                      // 000000002C18: 7F1C0280
	v_mov_b32_e32 v143, 0                                      // 000000002C1C: 7F1E0280
	v_mov_b32_e32 v144, 0                                      // 000000002C20: 7F200280
	v_mov_b32_e32 v145, 0                                      // 000000002C24: 7F220280
	s_mov_b32 s40, s34                                         // 000000002C28: BEA80022
	s_mov_b32 s39, 0                                           // 000000002C2C: BEA70080
	s_waitcnt vmcnt(48)                                        // 000000002C30: BF8CCF70
	s_barrier                                                  // 000000002C34: BF8A0000
	ds_read_b128 a[48:51], v58                                 // 000000002C38: DBFE0000 3000003A
	ds_read_b128 a[52:55], v58 offset:64                       // 000000002C40: DBFE0040 3400003A
	ds_read_b128 a[56:59], v58 offset:512                      // 000000002C48: DBFE0200 3800003A
	ds_read_b128 a[60:63], v58 offset:576                      // 000000002C50: DBFE0240 3C00003A
	ds_read_b128 a[64:67], v58 offset:1024                     // 000000002C58: DBFE0400 4000003A
	ds_read_b128 a[68:71], v58 offset:1088                     // 000000002C60: DBFE0440 4400003A
	ds_read_b128 a[72:75], v58 offset:1536                     // 000000002C68: DBFE0600 4800003A
	ds_read_b128 a[76:79], v58 offset:1600                     // 000000002C70: DBFE0640 4C00003A
	ds_read_b128 a[80:83], v58 offset:2048                     // 000000002C78: DBFE0800 5000003A
	ds_read_b128 a[84:87], v58 offset:2112                     // 000000002C80: DBFE0840 5400003A
	ds_read_b128 a[88:91], v58 offset:2560                     // 000000002C88: DBFE0A00 5800003A
	ds_read_b128 a[92:95], v58 offset:2624                     // 000000002C90: DBFE0A40 5C00003A
	ds_read_b128 a[96:99], v58 offset:3072                     // 000000002C98: DBFE0C00 6000003A
	ds_read_b128 a[100:103], v58 offset:3136                   // 000000002CA0: DBFE0C40 6400003A
	ds_read_b128 a[104:107], v58 offset:3584                   // 000000002CA8: DBFE0E00 6800003A
	ds_read_b128 a[108:111], v58 offset:3648                   // 000000002CB0: DBFE0E40 6C00003A
	ds_read_b128 a[112:115], v58 offset:4096                   // 000000002CB8: DBFE1000 7000003A
	ds_read_b128 a[116:119], v58 offset:4160                   // 000000002CC0: DBFE1040 7400003A
	ds_read_b128 a[120:123], v58 offset:4608                   // 000000002CC8: DBFE1200 7800003A
	ds_read_b128 a[124:127], v58 offset:4672                   // 000000002CD0: DBFE1240 7C00003A
	s_mov_b32 s47, 0                                           // 000000002CD8: BEAF0080
	s_mov_b32 s48, 1.0                                         // 000000002CDC: BEB000F2
	s_cmp_eq_u32 s47, s75                                      // 000000002CE0: BF064B2F
	s_cselect_b32 s47, s48, 0                                  // 000000002CE4: 852F8030
	v_mul_f32_e64 v220, v220, s47                              // 000000002CE8: D10500DC 00005FDC
	v_mul_f32_e64 v221, v221, s47                              // 000000002CF0: D10500DD 00005FDD
	v_mul_f32_e64 v222, v222, s47                              // 000000002CF8: D10500DE 00005FDE
	v_mul_f32_e64 v223, v223, s47                              // 000000002D00: D10500DF 00005FDF
	v_mul_f32_e64 v224, v224, s47                              // 000000002D08: D10500E0 00005FE0
	v_mul_f32_e64 v225, v225, s47                              // 000000002D10: D10500E1 00005FE1
	v_mul_f32_e64 v226, v226, s47                              // 000000002D18: D10500E2 00005FE2
	v_mul_f32_e64 v227, v227, s47                              // 000000002D20: D10500E3 00005FE3
	v_and_b32_e64 v16, v0, 15                                  // 000000002D28: D1130010 00011F00
	v_mul_lo_u32 v16, v16, s37                                 // 000000002D30: D2850010 00004B10
	v_lshrrev_b32_e32 v4, 4, v0                                // 000000002D38: 20080084
	v_mul_i32_i24_e32 v4, 8, v4                                // 000000002D3C: 0C080888
	v_add_u32_e32 v16, v4, v16                                 // 000000002D40: 68202104
	s_mul_i32 s47, 32, s44                                     // 000000002D44: 922F2CA0
	s_mul_i32 s47, 2, s47                                      // 000000002D48: 922F2F82
	v_add_u32_e32 v16, s47, v16                                // 000000002D4C: 6820202F
	s_mul_i32 s47, 16, s37                                     // 000000002D50: 922F2590
	v_add_u32_e32 v17, s47, v16                                // 000000002D54: 6822202F
	v_add_u32_e32 v18, s47, v17                                // 000000002D58: 6824222F
	v_add_u32_e32 v19, s47, v18                                // 000000002D5C: 6826242F
	v_add_u32_e32 v20, s47, v19                                // 000000002D60: 6828262F
	v_add_u32_e32 v21, s47, v20                                // 000000002D64: 682A282F
	v_add_u32_e32 v22, s47, v21                                // 000000002D68: 682C2A2F
	v_add_u32_e32 v23, s47, v22                                // 000000002D6C: 682E2C2F
	v_add_u32_e32 v24, s47, v23                                // 000000002D70: 68302E2F
	v_add_u32_e32 v25, s47, v24                                // 000000002D74: 6832302F
	s_mul_i32 s47, s44, s37                                    // 000000002D78: 922F252C
	v_lshlrev_b32_e32 v5, 2, v0                                // 000000002D7C: 240A0082
	v_add_u32_e32 v26, s47, v5                                 // 000000002D80: 68340A2F
	s_mul_i32 s47, s42, 0xa0                                   // 000000002D84: 922FFF2A 000000A0
	s_add_i32 s77, s47, s44                                    // 000000002D8C: 814D2C2F
	s_cmp_lt_i32 s39, s40                                      // 000000002D90: BF042827
	s_cbranch_scc0 label_0A93                                  // 000000002D94: BF84072D

0000000000002d98 <label_0366>:
	s_waitcnt vmcnt(24) lgkmcnt(0)                             // 000000002D98: BF8C4078
	s_barrier                                                  // 000000002D9C: BF8A0000
	v_mfma_i32_16x16x32_i8 v[66:69], a[0:1], a[48:49], v[66:69]// 000000002DA0: D3D70042 1D0A6100
	s_add_u32 m0, 0, s53                                       // 000000002DA8: 807C3580
	buffer_load_dword v38, s[4:7], 0 offen lds                 // 000000002DAC: E0511000 80010026
	v_mfma_i32_16x16x32_i8 v[66:69], a[2:3], a[50:51], v[66:69]// 000000002DB4: D3D70042 1D0A6502
	ds_read_b128 a[128:131], v58 offset:20608                  // 000000002DBC: DBFE5080 8000003A
	v_mfma_i32_16x16x32_i8 v[66:69], a[4:5], a[52:53], v[66:69]// 000000002DC4: D3D70042 1D0A6904
	s_add_u32 m0, 0x100, s53                                   // 000000002DCC: 807C35FF 00000100
	buffer_load_dword v39, s[4:7], 0 offen lds                 // 000000002DD4: E0511000 80010027
	v_mfma_i32_16x16x32_i8 v[66:69], a[6:7], a[54:55], v[66:69]// 000000002DDC: D3D70042 1D0A6D06
	ds_read_b128 a[132:135], v58 offset:20672                  // 000000002DE4: DBFE50C0 8400003A
	v_mfma_i32_16x16x32_i8 v[70:73], a[8:9], a[48:49], v[70:73]// 000000002DEC: D3D70046 1D1A6108
	buffer_load_dwordx4 a[32:35], v60, s[8:11], 0 offen        // 000000002DF4: E05C1000 8082203C
	v_mfma_i32_16x16x32_i8 v[70:73], a[10:11], a[50:51], v[70:73]// 000000002DFC: D3D70046 1D1A650A
	v_mfma_i32_16x16x32_i8 v[70:73], a[12:13], a[52:53], v[70:73]// 000000002E04: D3D70046 1D1A690C
	buffer_load_dwordx4 a[36:39], v61, s[8:11], 0 offen        // 000000002E0C: E05C1000 8082243D
	v_mfma_i32_16x16x32_i8 v[70:73], a[14:15], a[54:55], v[70:73]// 000000002E14: D3D70046 1D1A6D0E
	v_mfma_i32_16x16x32_i8 v[74:77], a[0:1], a[56:57], v[74:77]// 000000002E1C: D3D7004A 1D2A7100
	s_add_u32 m0, 0x200, s53                                   // 000000002E24: 807C35FF 00000200
	buffer_load_dword v40, s[4:7], 0 offen lds                 // 000000002E2C: E0511000 80010028
	v_mfma_i32_16x16x32_i8 v[74:77], a[2:3], a[58:59], v[74:77]// 000000002E34: D3D7004A 1D2A7502
	ds_read_b128 a[136:139], v58 offset:21120                  // 000000002E3C: DBFE5280 8800003A
	v_mfma_i32_16x16x32_i8 v[74:77], a[4:5], a[60:61], v[74:77]// 000000002E44: D3D7004A 1D2A7904
	s_add_u32 m0, 0x300, s53                                   // 000000002E4C: 807C35FF 00000300
	buffer_load_dword v41, s[4:7], 0 offen lds                 // 000000002E54: E0511000 80010029
	v_mfma_i32_16x16x32_i8 v[74:77], a[6:7], a[62:63], v[74:77]// 000000002E5C: D3D7004A 1D2A7D06
	ds_read_b128 a[140:143], v58 offset:21184                  // 000000002E64: DBFE52C0 8C00003A
	v_mfma_i32_16x16x32_i8 v[78:81], a[8:9], a[56:57], v[78:81]// 000000002E6C: D3D7004E 1D3A7108
	buffer_load_dwordx4 a[40:43], v62, s[8:11], 0 offen        // 000000002E74: E05C1000 8082283E
	v_mfma_i32_16x16x32_i8 v[78:81], a[10:11], a[58:59], v[78:81]// 000000002E7C: D3D7004E 1D3A750A
	v_mfma_i32_16x16x32_i8 v[78:81], a[12:13], a[60:61], v[78:81]// 000000002E84: D3D7004E 1D3A790C
	buffer_load_dwordx4 a[44:47], v63, s[8:11], 0 offen        // 000000002E8C: E05C1000 80822C3F
	v_mfma_i32_16x16x32_i8 v[78:81], a[14:15], a[62:63], v[78:81]// 000000002E94: D3D7004E 1D3A7D0E
	v_mfma_i32_16x16x32_i8 v[82:85], a[0:1], a[64:65], v[82:85]// 000000002E9C: D3D70052 1D4A8100
	s_add_u32 m0, 0x400, s53                                   // 000000002EA4: 807C35FF 00000400
	buffer_load_dword v42, s[4:7], 0 offen lds                 // 000000002EAC: E0511000 8001002A
	v_mfma_i32_16x16x32_i8 v[82:85], a[2:3], a[66:67], v[82:85]// 000000002EB4: D3D70052 1D4A8502
	ds_read_b128 a[144:147], v58 offset:21632                  // 000000002EBC: DBFE5480 9000003A
	v_mfma_i32_16x16x32_i8 v[82:85], a[4:5], a[68:69], v[82:85]// 000000002EC4: D3D70052 1D4A8904
	s_add_u32 m0, 0x500, s53                                   // 000000002ECC: 807C35FF 00000500
	buffer_load_dword v43, s[4:7], 0 offen lds                 // 000000002ED4: E0511000 8001002B
	v_mfma_i32_16x16x32_i8 v[82:85], a[6:7], a[70:71], v[82:85]// 000000002EDC: D3D70052 1D4A8D06
	ds_read_b128 a[148:151], v58 offset:21696                  // 000000002EE4: DBFE54C0 9400003A
	v_mfma_i32_16x16x32_i8 v[86:89], a[8:9], a[64:65], v[86:89]// 000000002EEC: D3D70056 1D5A8108
	v_mfma_i32_16x16x32_i8 v[86:89], a[10:11], a[66:67], v[86:89]// 000000002EF4: D3D70056 1D5A850A
	v_mfma_i32_16x16x32_i8 v[86:89], a[12:13], a[68:69], v[86:89]// 000000002EFC: D3D70056 1D5A890C
	v_mfma_i32_16x16x32_i8 v[86:89], a[14:15], a[70:71], v[86:89]// 000000002F04: D3D70056 1D5A8D0E
	v_mfma_i32_16x16x32_i8 v[90:93], a[0:1], a[72:73], v[90:93]// 000000002F0C: D3D7005A 1D6A9100
	s_add_u32 m0, 0x600, s53                                   // 000000002F14: 807C35FF 00000600
	buffer_load_dword v44, s[4:7], 0 offen lds                 // 000000002F1C: E0511000 8001002C
	v_mfma_i32_16x16x32_i8 v[90:93], a[2:3], a[74:75], v[90:93]// 000000002F24: D3D7005A 1D6A9502
	ds_read_b128 a[152:155], v58 offset:22144                  // 000000002F2C: DBFE5680 9800003A
	v_mfma_i32_16x16x32_i8 v[90:93], a[4:5], a[76:77], v[90:93]// 000000002F34: D3D7005A 1D6A9904
	s_add_u32 m0, 0x700, s53                                   // 000000002F3C: 807C35FF 00000700
	buffer_load_dword v45, s[4:7], 0 offen lds                 // 000000002F44: E0511000 8001002D
	v_mfma_i32_16x16x32_i8 v[90:93], a[6:7], a[78:79], v[90:93]// 000000002F4C: D3D7005A 1D6A9D06
	ds_read_b128 a[156:159], v58 offset:22208                  // 000000002F54: DBFE56C0 9C00003A
	v_mfma_i32_16x16x32_i8 v[94:97], a[8:9], a[72:73], v[94:97]// 000000002F5C: D3D7005E 1D7A9108
	v_mfma_i32_16x16x32_i8 v[94:97], a[10:11], a[74:75], v[94:97]// 000000002F64: D3D7005E 1D7A950A
	v_mfma_i32_16x16x32_i8 v[94:97], a[12:13], a[76:77], v[94:97]// 000000002F6C: D3D7005E 1D7A990C
	v_mfma_i32_16x16x32_i8 v[94:97], a[14:15], a[78:79], v[94:97]// 000000002F74: D3D7005E 1D7A9D0E
	v_mfma_i32_16x16x32_i8 v[98:101], a[0:1], a[80:81], v[98:101]// 000000002F7C: D3D70062 1D8AA100
	s_add_u32 m0, 0x800, s53                                   // 000000002F84: 807C35FF 00000800
	buffer_load_dword v46, s[4:7], 0 offen lds                 // 000000002F8C: E0511000 8001002E
	v_mfma_i32_16x16x32_i8 v[98:101], a[2:3], a[82:83], v[98:101]// 000000002F94: D3D70062 1D8AA502
	ds_read_b128 a[160:163], v58 offset:22656                  // 000000002F9C: DBFE5880 A000003A
	v_mfma_i32_16x16x32_i8 v[98:101], a[4:5], a[84:85], v[98:101]// 000000002FA4: D3D70062 1D8AA904
	s_add_u32 m0, 0x900, s53                                   // 000000002FAC: 807C35FF 00000900
	buffer_load_dword v47, s[4:7], 0 offen lds                 // 000000002FB4: E0511000 8001002F
	v_mfma_i32_16x16x32_i8 v[98:101], a[6:7], a[86:87], v[98:101]// 000000002FBC: D3D70062 1D8AAD06
	ds_read_b128 a[164:167], v58 offset:22720                  // 000000002FC4: DBFE58C0 A400003A
	v_mfma_i32_16x16x32_i8 v[102:105], a[8:9], a[80:81], v[102:105]// 000000002FCC: D3D70066 1D9AA108
	v_mfma_i32_16x16x32_i8 v[102:105], a[10:11], a[82:83], v[102:105]// 000000002FD4: D3D70066 1D9AA50A
	v_mfma_i32_16x16x32_i8 v[102:105], a[12:13], a[84:85], v[102:105]// 000000002FDC: D3D70066 1D9AA90C
	v_mfma_i32_16x16x32_i8 v[102:105], a[14:15], a[86:87], v[102:105]// 000000002FE4: D3D70066 1D9AAD0E
	v_mfma_i32_16x16x32_i8 v[106:109], a[0:1], a[88:89], v[106:109]// 000000002FEC: D3D7006A 1DAAB100
	s_add_u32 m0, 0xa00, s53                                   // 000000002FF4: 807C35FF 00000A00
	buffer_load_dword v48, s[4:7], 0 offen lds                 // 000000002FFC: E0511000 80010030
	v_mfma_i32_16x16x32_i8 v[106:109], a[2:3], a[90:91], v[106:109]// 000000003004: D3D7006A 1DAAB502
	ds_read_b128 a[168:171], v58 offset:23168                  // 00000000300C: DBFE5A80 A800003A
	v_mfma_i32_16x16x32_i8 v[106:109], a[4:5], a[92:93], v[106:109]// 000000003014: D3D7006A 1DAAB904
	s_add_u32 m0, 0xb00, s53                                   // 00000000301C: 807C35FF 00000B00
	buffer_load_dword v49, s[4:7], 0 offen lds                 // 000000003024: E0511000 80010031
	v_mfma_i32_16x16x32_i8 v[106:109], a[6:7], a[94:95], v[106:109]// 00000000302C: D3D7006A 1DAABD06
	ds_read_b128 a[172:175], v58 offset:23232                  // 000000003034: DBFE5AC0 AC00003A
	v_mfma_i32_16x16x32_i8 v[110:113], a[8:9], a[88:89], v[110:113]// 00000000303C: D3D7006E 1DBAB108
	v_mfma_i32_16x16x32_i8 v[110:113], a[10:11], a[90:91], v[110:113]// 000000003044: D3D7006E 1DBAB50A
	v_mfma_i32_16x16x32_i8 v[110:113], a[12:13], a[92:93], v[110:113]// 00000000304C: D3D7006E 1DBAB90C
	v_mfma_i32_16x16x32_i8 v[110:113], a[14:15], a[94:95], v[110:113]// 000000003054: D3D7006E 1DBABD0E
	v_mfma_i32_16x16x32_i8 v[114:117], a[0:1], a[96:97], v[114:117]// 00000000305C: D3D70072 1DCAC100
	s_add_u32 m0, 0xc00, s53                                   // 000000003064: 807C35FF 00000C00
	buffer_load_dword v50, s[4:7], 0 offen lds                 // 00000000306C: E0511000 80010032
	v_mfma_i32_16x16x32_i8 v[114:117], a[2:3], a[98:99], v[114:117]// 000000003074: D3D70072 1DCAC502
	ds_read_b128 a[176:179], v58 offset:23680                  // 00000000307C: DBFE5C80 B000003A
	v_mfma_i32_16x16x32_i8 v[114:117], a[4:5], a[100:101], v[114:117]// 000000003084: D3D70072 1DCAC904
	s_add_u32 m0, 0xd00, s53                                   // 00000000308C: 807C35FF 00000D00
	buffer_load_dword v51, s[4:7], 0 offen lds                 // 000000003094: E0511000 80010033
	v_mfma_i32_16x16x32_i8 v[114:117], a[6:7], a[102:103], v[114:117]// 00000000309C: D3D70072 1DCACD06
	ds_read_b128 a[180:183], v58 offset:23744                  // 0000000030A4: DBFE5CC0 B400003A
	v_mfma_i32_16x16x32_i8 v[118:121], a[8:9], a[96:97], v[118:121]// 0000000030AC: D3D70076 1DDAC108
	v_mfma_i32_16x16x32_i8 v[118:121], a[10:11], a[98:99], v[118:121]// 0000000030B4: D3D70076 1DDAC50A
	v_mfma_i32_16x16x32_i8 v[118:121], a[12:13], a[100:101], v[118:121]// 0000000030BC: D3D70076 1DDAC90C
	v_mfma_i32_16x16x32_i8 v[118:121], a[14:15], a[102:103], v[118:121]// 0000000030C4: D3D70076 1DDACD0E
	v_mfma_i32_16x16x32_i8 v[122:125], a[0:1], a[104:105], v[122:125]// 0000000030CC: D3D7007A 1DEAD100
	s_add_u32 m0, 0xe00, s53                                   // 0000000030D4: 807C35FF 00000E00
	buffer_load_dword v52, s[4:7], 0 offen lds                 // 0000000030DC: E0511000 80010034
	v_mfma_i32_16x16x32_i8 v[122:125], a[2:3], a[106:107], v[122:125]// 0000000030E4: D3D7007A 1DEAD502
	ds_read_b128 a[184:187], v58 offset:24192                  // 0000000030EC: DBFE5E80 B800003A
	v_mfma_i32_16x16x32_i8 v[122:125], a[4:5], a[108:109], v[122:125]// 0000000030F4: D3D7007A 1DEAD904
	s_add_u32 m0, 0xf00, s53                                   // 0000000030FC: 807C35FF 00000F00
	buffer_load_dword v53, s[4:7], 0 offen lds                 // 000000003104: E0511000 80010035
	v_mfma_i32_16x16x32_i8 v[122:125], a[6:7], a[110:111], v[122:125]// 00000000310C: D3D7007A 1DEADD06
	ds_read_b128 a[188:191], v58 offset:24256                  // 000000003114: DBFE5EC0 BC00003A
	v_mfma_i32_16x16x32_i8 v[126:129], a[8:9], a[104:105], v[126:129]// 00000000311C: D3D7007E 1DFAD108
	v_mfma_i32_16x16x32_i8 v[126:129], a[10:11], a[106:107], v[126:129]// 000000003124: D3D7007E 1DFAD50A
	v_mfma_i32_16x16x32_i8 v[126:129], a[12:13], a[108:109], v[126:129]// 00000000312C: D3D7007E 1DFAD90C
	v_mfma_i32_16x16x32_i8 v[126:129], a[14:15], a[110:111], v[126:129]// 000000003134: D3D7007E 1DFADD0E
	v_mfma_i32_16x16x32_i8 v[130:133], a[0:1], a[112:113], v[130:133]// 00000000313C: D3D70082 1E0AE100
	s_add_u32 m0, 0x1000, s53                                  // 000000003144: 807C35FF 00001000
	buffer_load_dword v54, s[4:7], 0 offen lds                 // 00000000314C: E0511000 80010036
	v_mfma_i32_16x16x32_i8 v[130:133], a[2:3], a[114:115], v[130:133]// 000000003154: D3D70082 1E0AE502
	ds_read_b128 a[192:195], v58 offset:24704                  // 00000000315C: DBFE6080 C000003A
	v_mfma_i32_16x16x32_i8 v[130:133], a[4:5], a[116:117], v[130:133]// 000000003164: D3D70082 1E0AE904
	s_add_u32 m0, 0x1100, s53                                  // 00000000316C: 807C35FF 00001100
	buffer_load_dword v55, s[4:7], 0 offen lds                 // 000000003174: E0511000 80010037
	v_mfma_i32_16x16x32_i8 v[130:133], a[6:7], a[118:119], v[130:133]// 00000000317C: D3D70082 1E0AED06
	ds_read_b128 a[196:199], v58 offset:24768                  // 000000003184: DBFE60C0 C400003A
	v_mfma_i32_16x16x32_i8 v[134:137], a[8:9], a[112:113], v[134:137]// 00000000318C: D3D70086 1E1AE108
	v_mfma_i32_16x16x32_i8 v[134:137], a[10:11], a[114:115], v[134:137]// 000000003194: D3D70086 1E1AE50A
	v_mfma_i32_16x16x32_i8 v[134:137], a[12:13], a[116:117], v[134:137]// 00000000319C: D3D70086 1E1AE90C
	v_mfma_i32_16x16x32_i8 v[134:137], a[14:15], a[118:119], v[134:137]// 0000000031A4: D3D70086 1E1AED0E
	v_mfma_i32_16x16x32_i8 v[138:141], a[0:1], a[120:121], v[138:141]// 0000000031AC: D3D7008A 1E2AF100
	s_add_u32 m0, 0x1200, s53                                  // 0000000031B4: 807C35FF 00001200
	buffer_load_dword v56, s[4:7], 0 offen lds                 // 0000000031BC: E0511000 80010038
	v_mfma_i32_16x16x32_i8 v[138:141], a[2:3], a[122:123], v[138:141]// 0000000031C4: D3D7008A 1E2AF502
	ds_read_b128 a[200:203], v58 offset:25216                  // 0000000031CC: DBFE6280 C800003A
	v_mfma_i32_16x16x32_i8 v[138:141], a[4:5], a[124:125], v[138:141]// 0000000031D4: D3D7008A 1E2AF904
	s_add_u32 m0, 0x1300, s53                                  // 0000000031DC: 807C35FF 00001300
	buffer_load_dword v57, s[4:7], 0 offen lds                 // 0000000031E4: E0511000 80010039
	v_mfma_i32_16x16x32_i8 v[138:141], a[6:7], a[126:127], v[138:141]// 0000000031EC: D3D7008A 1E2AFD06
	ds_read_b128 a[204:207], v58 offset:25280                  // 0000000031F4: DBFE62C0 CC00003A
	v_mfma_i32_16x16x32_i8 v[142:145], a[8:9], a[120:121], v[142:145]// 0000000031FC: D3D7008E 1E3AF108
	v_mfma_i32_16x16x32_i8 v[142:145], a[10:11], a[122:123], v[142:145]// 000000003204: D3D7008E 1E3AF50A
	s_add_u32 s47, 0x200, s39                                  // 00000000320C: 802F27FF 00000200
	s_cmp_lt_u32 s47, s40                                      // 000000003214: BF0A282F
	s_cselect_b32 s51, s51, 0                                  // 000000003218: 85338033
	s_add_u32 s47, 0x180, s39                                  // 00000000321C: 802F27FF 00000180
	s_cmp_lt_u32 s47, s40                                      // 000000003224: BF0A282F
	s_cselect_b32 s52, s52, 0                                  // 000000003228: 85348034
	v_mfma_i32_16x16x32_i8 v[142:145], a[12:13], a[124:125], v[142:145]// 00000000322C: D3D7008E 1E3AF90C
	v_mfma_i32_16x16x32_i8 v[142:145], a[14:15], a[126:127], v[142:145]// 000000003234: D3D7008E 1E3AFD0E
	s_add_u32 s4, s51, s4                                      // 00000000323C: 80040433
	s_addc_u32 s5, 0, s5                                       // 000000003240: 82050580
	s_sub_u32 s6, s6, s51                                      // 000000003244: 80863306
	s_add_u32 s8, s52, s8                                      // 000000003248: 80080834
	s_addc_u32 s9, 0, s9                                       // 00000000324C: 82090980
	s_sub_u32 s10, s10, s52                                    // 000000003250: 808A340A
	s_addk_i32 s39, 0x80                                       // 000000003254: B7270080
	s_cmp_lt_i32 s39, s40                                      // 000000003258: BF042827
	s_cbranch_scc0 label_0A93                                  // 00000000325C: BF8405FB
	s_waitcnt vmcnt(24) lgkmcnt(0)                             // 000000003260: BF8C4078
	s_barrier                                                  // 000000003264: BF8A0000
	v_mfma_i32_16x16x32_i8 v[66:69], a[16:17], a[128:129], v[66:69]// 000000003268: D3D70042 1D0B0110
	s_add_u32 m0, 0, s54                                       // 000000003270: 807C3680
	buffer_load_dword v38, s[4:7], 0 offen lds                 // 000000003274: E0511000 80010026
	v_mfma_i32_16x16x32_i8 v[66:69], a[18:19], a[130:131], v[66:69]// 00000000327C: D3D70042 1D0B0512
	ds_read_b128 a[48:51], v58 offset:41216                    // 000000003284: DBFEA100 3000003A
	v_mfma_i32_16x16x32_i8 v[66:69], a[20:21], a[132:133], v[66:69]// 00000000328C: D3D70042 1D0B0914
	s_add_u32 m0, 0x100, s54                                   // 000000003294: 807C36FF 00000100
	buffer_load_dword v39, s[4:7], 0 offen lds                 // 00000000329C: E0511000 80010027
	v_mfma_i32_16x16x32_i8 v[66:69], a[22:23], a[134:135], v[66:69]// 0000000032A4: D3D70042 1D0B0D16
	ds_read_b128 a[52:55], v58 offset:41280                    // 0000000032AC: DBFEA140 3400003A
	v_mfma_i32_16x16x32_i8 v[70:73], a[24:25], a[128:129], v[70:73]// 0000000032B4: D3D70046 1D1B0118
	buffer_load_dwordx4 a[0:3], v60, s[8:11], 0 offen          // 0000000032BC: E05C1000 8082003C
	v_mfma_i32_16x16x32_i8 v[70:73], a[26:27], a[130:131], v[70:73]// 0000000032C4: D3D70046 1D1B051A
	v_mfma_i32_16x16x32_i8 v[70:73], a[28:29], a[132:133], v[70:73]// 0000000032CC: D3D70046 1D1B091C
	buffer_load_dwordx4 a[4:7], v61, s[8:11], 0 offen          // 0000000032D4: E05C1000 8082043D
	v_mfma_i32_16x16x32_i8 v[70:73], a[30:31], a[134:135], v[70:73]// 0000000032DC: D3D70046 1D1B0D1E
	v_mfma_i32_16x16x32_i8 v[74:77], a[16:17], a[136:137], v[74:77]// 0000000032E4: D3D7004A 1D2B1110
	s_add_u32 m0, 0x200, s54                                   // 0000000032EC: 807C36FF 00000200
	buffer_load_dword v40, s[4:7], 0 offen lds                 // 0000000032F4: E0511000 80010028
	v_mfma_i32_16x16x32_i8 v[74:77], a[18:19], a[138:139], v[74:77]// 0000000032FC: D3D7004A 1D2B1512
	ds_read_b128 a[56:59], v58 offset:41728                    // 000000003304: DBFEA300 3800003A
	v_mfma_i32_16x16x32_i8 v[74:77], a[20:21], a[140:141], v[74:77]// 00000000330C: D3D7004A 1D2B1914
	s_add_u32 m0, 0x300, s54                                   // 000000003314: 807C36FF 00000300
	buffer_load_dword v41, s[4:7], 0 offen lds                 // 00000000331C: E0511000 80010029
	v_mfma_i32_16x16x32_i8 v[74:77], a[22:23], a[142:143], v[74:77]// 000000003324: D3D7004A 1D2B1D16
	ds_read_b128 a[60:63], v58 offset:41792                    // 00000000332C: DBFEA340 3C00003A
	v_mfma_i32_16x16x32_i8 v[78:81], a[24:25], a[136:137], v[78:81]// 000000003334: D3D7004E 1D3B1118
	buffer_load_dwordx4 a[8:11], v62, s[8:11], 0 offen         // 00000000333C: E05C1000 8082083E
	v_mfma_i32_16x16x32_i8 v[78:81], a[26:27], a[138:139], v[78:81]// 000000003344: D3D7004E 1D3B151A
	v_mfma_i32_16x16x32_i8 v[78:81], a[28:29], a[140:141], v[78:81]// 00000000334C: D3D7004E 1D3B191C
	buffer_load_dwordx4 a[12:15], v63, s[8:11], 0 offen        // 000000003354: E05C1000 80820C3F
	v_mfma_i32_16x16x32_i8 v[78:81], a[30:31], a[142:143], v[78:81]// 00000000335C: D3D7004E 1D3B1D1E
	v_mfma_i32_16x16x32_i8 v[82:85], a[16:17], a[144:145], v[82:85]// 000000003364: D3D70052 1D4B2110
	s_add_u32 m0, 0x400, s54                                   // 00000000336C: 807C36FF 00000400
	buffer_load_dword v42, s[4:7], 0 offen lds                 // 000000003374: E0511000 8001002A
	v_mfma_i32_16x16x32_i8 v[82:85], a[18:19], a[146:147], v[82:85]// 00000000337C: D3D70052 1D4B2512
	ds_read_b128 a[64:67], v58 offset:42240                    // 000000003384: DBFEA500 4000003A
	v_mfma_i32_16x16x32_i8 v[82:85], a[20:21], a[148:149], v[82:85]// 00000000338C: D3D70052 1D4B2914
	s_add_u32 m0, 0x500, s54                                   // 000000003394: 807C36FF 00000500
	buffer_load_dword v43, s[4:7], 0 offen lds                 // 00000000339C: E0511000 8001002B
	v_mfma_i32_16x16x32_i8 v[82:85], a[22:23], a[150:151], v[82:85]// 0000000033A4: D3D70052 1D4B2D16
	ds_read_b128 a[68:71], v58 offset:42304                    // 0000000033AC: DBFEA540 4400003A
	v_mfma_i32_16x16x32_i8 v[86:89], a[24:25], a[144:145], v[86:89]// 0000000033B4: D3D70056 1D5B2118
	v_mfma_i32_16x16x32_i8 v[86:89], a[26:27], a[146:147], v[86:89]// 0000000033BC: D3D70056 1D5B251A
	v_mfma_i32_16x16x32_i8 v[86:89], a[28:29], a[148:149], v[86:89]// 0000000033C4: D3D70056 1D5B291C
	v_mfma_i32_16x16x32_i8 v[86:89], a[30:31], a[150:151], v[86:89]// 0000000033CC: D3D70056 1D5B2D1E
	v_mfma_i32_16x16x32_i8 v[90:93], a[16:17], a[152:153], v[90:93]// 0000000033D4: D3D7005A 1D6B3110
	s_add_u32 m0, 0x600, s54                                   // 0000000033DC: 807C36FF 00000600
	buffer_load_dword v44, s[4:7], 0 offen lds                 // 0000000033E4: E0511000 8001002C
	v_mfma_i32_16x16x32_i8 v[90:93], a[18:19], a[154:155], v[90:93]// 0000000033EC: D3D7005A 1D6B3512
	ds_read_b128 a[72:75], v58 offset:42752                    // 0000000033F4: DBFEA700 4800003A
	v_mfma_i32_16x16x32_i8 v[90:93], a[20:21], a[156:157], v[90:93]// 0000000033FC: D3D7005A 1D6B3914
	s_add_u32 m0, 0x700, s54                                   // 000000003404: 807C36FF 00000700
	buffer_load_dword v45, s[4:7], 0 offen lds                 // 00000000340C: E0511000 8001002D
	v_mfma_i32_16x16x32_i8 v[90:93], a[22:23], a[158:159], v[90:93]// 000000003414: D3D7005A 1D6B3D16
	ds_read_b128 a[76:79], v58 offset:42816                    // 00000000341C: DBFEA740 4C00003A
	v_mfma_i32_16x16x32_i8 v[94:97], a[24:25], a[152:153], v[94:97]// 000000003424: D3D7005E 1D7B3118
	v_mfma_i32_16x16x32_i8 v[94:97], a[26:27], a[154:155], v[94:97]// 00000000342C: D3D7005E 1D7B351A
	v_mfma_i32_16x16x32_i8 v[94:97], a[28:29], a[156:157], v[94:97]// 000000003434: D3D7005E 1D7B391C
	v_mfma_i32_16x16x32_i8 v[94:97], a[30:31], a[158:159], v[94:97]// 00000000343C: D3D7005E 1D7B3D1E
	v_mfma_i32_16x16x32_i8 v[98:101], a[16:17], a[160:161], v[98:101]// 000000003444: D3D70062 1D8B4110
	s_add_u32 m0, 0x800, s54                                   // 00000000344C: 807C36FF 00000800
	buffer_load_dword v46, s[4:7], 0 offen lds                 // 000000003454: E0511000 8001002E
	v_mfma_i32_16x16x32_i8 v[98:101], a[18:19], a[162:163], v[98:101]// 00000000345C: D3D70062 1D8B4512
	ds_read_b128 a[80:83], v58 offset:43264                    // 000000003464: DBFEA900 5000003A
	v_mfma_i32_16x16x32_i8 v[98:101], a[20:21], a[164:165], v[98:101]// 00000000346C: D3D70062 1D8B4914
	s_add_u32 m0, 0x900, s54                                   // 000000003474: 807C36FF 00000900
	buffer_load_dword v47, s[4:7], 0 offen lds                 // 00000000347C: E0511000 8001002F
	v_mfma_i32_16x16x32_i8 v[98:101], a[22:23], a[166:167], v[98:101]// 000000003484: D3D70062 1D8B4D16
	ds_read_b128 a[84:87], v58 offset:43328                    // 00000000348C: DBFEA940 5400003A
	v_mfma_i32_16x16x32_i8 v[102:105], a[24:25], a[160:161], v[102:105]// 000000003494: D3D70066 1D9B4118
	v_mfma_i32_16x16x32_i8 v[102:105], a[26:27], a[162:163], v[102:105]// 00000000349C: D3D70066 1D9B451A
	v_mfma_i32_16x16x32_i8 v[102:105], a[28:29], a[164:165], v[102:105]// 0000000034A4: D3D70066 1D9B491C
	v_mfma_i32_16x16x32_i8 v[102:105], a[30:31], a[166:167], v[102:105]// 0000000034AC: D3D70066 1D9B4D1E
	v_mfma_i32_16x16x32_i8 v[106:109], a[16:17], a[168:169], v[106:109]// 0000000034B4: D3D7006A 1DAB5110
	s_add_u32 m0, 0xa00, s54                                   // 0000000034BC: 807C36FF 00000A00
	buffer_load_dword v48, s[4:7], 0 offen lds                 // 0000000034C4: E0511000 80010030
	v_mfma_i32_16x16x32_i8 v[106:109], a[18:19], a[170:171], v[106:109]// 0000000034CC: D3D7006A 1DAB5512
	ds_read_b128 a[88:91], v58 offset:43776                    // 0000000034D4: DBFEAB00 5800003A
	v_mfma_i32_16x16x32_i8 v[106:109], a[20:21], a[172:173], v[106:109]// 0000000034DC: D3D7006A 1DAB5914
	s_add_u32 m0, 0xb00, s54                                   // 0000000034E4: 807C36FF 00000B00
	buffer_load_dword v49, s[4:7], 0 offen lds                 // 0000000034EC: E0511000 80010031
	v_mfma_i32_16x16x32_i8 v[106:109], a[22:23], a[174:175], v[106:109]// 0000000034F4: D3D7006A 1DAB5D16
	ds_read_b128 a[92:95], v58 offset:43840                    // 0000000034FC: DBFEAB40 5C00003A
	v_mfma_i32_16x16x32_i8 v[110:113], a[24:25], a[168:169], v[110:113]// 000000003504: D3D7006E 1DBB5118
	v_mfma_i32_16x16x32_i8 v[110:113], a[26:27], a[170:171], v[110:113]// 00000000350C: D3D7006E 1DBB551A
	v_mfma_i32_16x16x32_i8 v[110:113], a[28:29], a[172:173], v[110:113]// 000000003514: D3D7006E 1DBB591C
	v_mfma_i32_16x16x32_i8 v[110:113], a[30:31], a[174:175], v[110:113]// 00000000351C: D3D7006E 1DBB5D1E
	v_mfma_i32_16x16x32_i8 v[114:117], a[16:17], a[176:177], v[114:117]// 000000003524: D3D70072 1DCB6110
	s_add_u32 m0, 0xc00, s54                                   // 00000000352C: 807C36FF 00000C00
	buffer_load_dword v50, s[4:7], 0 offen lds                 // 000000003534: E0511000 80010032
	v_mfma_i32_16x16x32_i8 v[114:117], a[18:19], a[178:179], v[114:117]// 00000000353C: D3D70072 1DCB6512
	ds_read_b128 a[96:99], v58 offset:44288                    // 000000003544: DBFEAD00 6000003A
	v_mfma_i32_16x16x32_i8 v[114:117], a[20:21], a[180:181], v[114:117]// 00000000354C: D3D70072 1DCB6914
	s_add_u32 m0, 0xd00, s54                                   // 000000003554: 807C36FF 00000D00
	buffer_load_dword v51, s[4:7], 0 offen lds                 // 00000000355C: E0511000 80010033
	v_mfma_i32_16x16x32_i8 v[114:117], a[22:23], a[182:183], v[114:117]// 000000003564: D3D70072 1DCB6D16
	ds_read_b128 a[100:103], v58 offset:44352                  // 00000000356C: DBFEAD40 6400003A
	v_mfma_i32_16x16x32_i8 v[118:121], a[24:25], a[176:177], v[118:121]// 000000003574: D3D70076 1DDB6118
	v_mfma_i32_16x16x32_i8 v[118:121], a[26:27], a[178:179], v[118:121]// 00000000357C: D3D70076 1DDB651A
	v_mfma_i32_16x16x32_i8 v[118:121], a[28:29], a[180:181], v[118:121]// 000000003584: D3D70076 1DDB691C
	v_mfma_i32_16x16x32_i8 v[118:121], a[30:31], a[182:183], v[118:121]// 00000000358C: D3D70076 1DDB6D1E
	v_mfma_i32_16x16x32_i8 v[122:125], a[16:17], a[184:185], v[122:125]// 000000003594: D3D7007A 1DEB7110
	s_add_u32 m0, 0xe00, s54                                   // 00000000359C: 807C36FF 00000E00
	buffer_load_dword v52, s[4:7], 0 offen lds                 // 0000000035A4: E0511000 80010034
	v_mfma_i32_16x16x32_i8 v[122:125], a[18:19], a[186:187], v[122:125]// 0000000035AC: D3D7007A 1DEB7512
	ds_read_b128 a[104:107], v58 offset:44800                  // 0000000035B4: DBFEAF00 6800003A
	v_mfma_i32_16x16x32_i8 v[122:125], a[20:21], a[188:189], v[122:125]// 0000000035BC: D3D7007A 1DEB7914
	s_add_u32 m0, 0xf00, s54                                   // 0000000035C4: 807C36FF 00000F00
	buffer_load_dword v53, s[4:7], 0 offen lds                 // 0000000035CC: E0511000 80010035
	v_mfma_i32_16x16x32_i8 v[122:125], a[22:23], a[190:191], v[122:125]// 0000000035D4: D3D7007A 1DEB7D16
	ds_read_b128 a[108:111], v58 offset:44864                  // 0000000035DC: DBFEAF40 6C00003A
	v_mfma_i32_16x16x32_i8 v[126:129], a[24:25], a[184:185], v[126:129]// 0000000035E4: D3D7007E 1DFB7118
	v_mfma_i32_16x16x32_i8 v[126:129], a[26:27], a[186:187], v[126:129]// 0000000035EC: D3D7007E 1DFB751A
	v_mfma_i32_16x16x32_i8 v[126:129], a[28:29], a[188:189], v[126:129]// 0000000035F4: D3D7007E 1DFB791C
	v_mfma_i32_16x16x32_i8 v[126:129], a[30:31], a[190:191], v[126:129]// 0000000035FC: D3D7007E 1DFB7D1E
	v_mfma_i32_16x16x32_i8 v[130:133], a[16:17], a[192:193], v[130:133]// 000000003604: D3D70082 1E0B8110
	s_add_u32 m0, 0x1000, s54                                  // 00000000360C: 807C36FF 00001000
	buffer_load_dword v54, s[4:7], 0 offen lds                 // 000000003614: E0511000 80010036
	v_mfma_i32_16x16x32_i8 v[130:133], a[18:19], a[194:195], v[130:133]// 00000000361C: D3D70082 1E0B8512
	ds_read_b128 a[112:115], v58 offset:45312                  // 000000003624: DBFEB100 7000003A
	v_mfma_i32_16x16x32_i8 v[130:133], a[20:21], a[196:197], v[130:133]// 00000000362C: D3D70082 1E0B8914
	s_add_u32 m0, 0x1100, s54                                  // 000000003634: 807C36FF 00001100
	buffer_load_dword v55, s[4:7], 0 offen lds                 // 00000000363C: E0511000 80010037
	v_mfma_i32_16x16x32_i8 v[130:133], a[22:23], a[198:199], v[130:133]// 000000003644: D3D70082 1E0B8D16
	ds_read_b128 a[116:119], v58 offset:45376                  // 00000000364C: DBFEB140 7400003A
	v_mfma_i32_16x16x32_i8 v[134:137], a[24:25], a[192:193], v[134:137]// 000000003654: D3D70086 1E1B8118
	v_mfma_i32_16x16x32_i8 v[134:137], a[26:27], a[194:195], v[134:137]// 00000000365C: D3D70086 1E1B851A
	v_mfma_i32_16x16x32_i8 v[134:137], a[28:29], a[196:197], v[134:137]// 000000003664: D3D70086 1E1B891C
	v_mfma_i32_16x16x32_i8 v[134:137], a[30:31], a[198:199], v[134:137]// 00000000366C: D3D70086 1E1B8D1E
	v_mfma_i32_16x16x32_i8 v[138:141], a[16:17], a[200:201], v[138:141]// 000000003674: D3D7008A 1E2B9110
	s_add_u32 m0, 0x1200, s54                                  // 00000000367C: 807C36FF 00001200
	buffer_load_dword v56, s[4:7], 0 offen lds                 // 000000003684: E0511000 80010038
	v_mfma_i32_16x16x32_i8 v[138:141], a[18:19], a[202:203], v[138:141]// 00000000368C: D3D7008A 1E2B9512
	ds_read_b128 a[120:123], v58 offset:45824                  // 000000003694: DBFEB300 7800003A
	v_mfma_i32_16x16x32_i8 v[138:141], a[20:21], a[204:205], v[138:141]// 00000000369C: D3D7008A 1E2B9914
	s_add_u32 m0, 0x1300, s54                                  // 0000000036A4: 807C36FF 00001300
	buffer_load_dword v57, s[4:7], 0 offen lds                 // 0000000036AC: E0511000 80010039
	v_mfma_i32_16x16x32_i8 v[138:141], a[22:23], a[206:207], v[138:141]// 0000000036B4: D3D7008A 1E2B9D16
	ds_read_b128 a[124:127], v58 offset:45888                  // 0000000036BC: DBFEB340 7C00003A
	v_mfma_i32_16x16x32_i8 v[142:145], a[24:25], a[200:201], v[142:145]// 0000000036C4: D3D7008E 1E3B9118
	v_mfma_i32_16x16x32_i8 v[142:145], a[26:27], a[202:203], v[142:145]// 0000000036CC: D3D7008E 1E3B951A
	s_add_u32 s47, 0x200, s39                                  // 0000000036D4: 802F27FF 00000200
	s_cmp_lt_u32 s47, s40                                      // 0000000036DC: BF0A282F
	s_cselect_b32 s51, s51, 0                                  // 0000000036E0: 85338033
	s_add_u32 s47, 0x180, s39                                  // 0000000036E4: 802F27FF 00000180
	s_cmp_lt_u32 s47, s40                                      // 0000000036EC: BF0A282F
	s_cselect_b32 s52, s52, 0                                  // 0000000036F0: 85348034
	v_mfma_i32_16x16x32_i8 v[142:145], a[28:29], a[204:205], v[142:145]// 0000000036F4: D3D7008E 1E3B991C
	v_mfma_i32_16x16x32_i8 v[142:145], a[30:31], a[206:207], v[142:145]// 0000000036FC: D3D7008E 1E3B9D1E
	s_add_u32 s4, s51, s4                                      // 000000003704: 80040433
	s_addc_u32 s5, 0, s5                                       // 000000003708: 82050580
	s_sub_u32 s6, s6, s51                                      // 00000000370C: 80863306
	s_add_u32 s8, s52, s8                                      // 000000003710: 80080834
	s_addc_u32 s9, 0, s9                                       // 000000003714: 82090980
	s_sub_u32 s10, s10, s52                                    // 000000003718: 808A340A
	s_addk_i32 s39, 0x80                                       // 00000000371C: B7270080
	s_cmp_lt_i32 s39, s40                                      // 000000003720: BF042827
	s_cbranch_scc0 label_0A93                                  // 000000003724: BF8404C9
	s_waitcnt vmcnt(24) lgkmcnt(0)                             // 000000003728: BF8C4078
	s_barrier                                                  // 00000000372C: BF8A0000
	v_mfma_i32_16x16x32_i8 v[66:69], a[32:33], a[48:49], v[66:69]// 000000003730: D3D70042 1D0A6120
	s_add_u32 m0, 0, s55                                       // 000000003738: 807C3780
	buffer_load_dword v38, s[4:7], 0 offen lds                 // 00000000373C: E0511000 80010026
	v_mfma_i32_16x16x32_i8 v[66:69], a[34:35], a[50:51], v[66:69]// 000000003744: D3D70042 1D0A6522
	ds_read_b128 a[128:131], v58                               // 00000000374C: DBFE0000 8000003A
	v_mfma_i32_16x16x32_i8 v[66:69], a[36:37], a[52:53], v[66:69]// 000000003754: D3D70042 1D0A6924
	s_add_u32 m0, 0x100, s55                                   // 00000000375C: 807C37FF 00000100
	buffer_load_dword v39, s[4:7], 0 offen lds                 // 000000003764: E0511000 80010027
	v_mfma_i32_16x16x32_i8 v[66:69], a[38:39], a[54:55], v[66:69]// 00000000376C: D3D70042 1D0A6D26
	ds_read_b128 a[132:135], v58 offset:64                     // 000000003774: DBFE0040 8400003A
	v_mfma_i32_16x16x32_i8 v[70:73], a[40:41], a[48:49], v[70:73]// 00000000377C: D3D70046 1D1A6128
	buffer_load_dwordx4 a[16:19], v60, s[8:11], 0 offen        // 000000003784: E05C1000 8082103C
	v_mfma_i32_16x16x32_i8 v[70:73], a[42:43], a[50:51], v[70:73]// 00000000378C: D3D70046 1D1A652A
	v_mfma_i32_16x16x32_i8 v[70:73], a[44:45], a[52:53], v[70:73]// 000000003794: D3D70046 1D1A692C
	buffer_load_dwordx4 a[20:23], v61, s[8:11], 0 offen        // 00000000379C: E05C1000 8082143D
	v_mfma_i32_16x16x32_i8 v[70:73], a[46:47], a[54:55], v[70:73]// 0000000037A4: D3D70046 1D1A6D2E
	v_mfma_i32_16x16x32_i8 v[74:77], a[32:33], a[56:57], v[74:77]// 0000000037AC: D3D7004A 1D2A7120
	s_add_u32 m0, 0x200, s55                                   // 0000000037B4: 807C37FF 00000200
	buffer_load_dword v40, s[4:7], 0 offen lds                 // 0000000037BC: E0511000 80010028
	v_mfma_i32_16x16x32_i8 v[74:77], a[34:35], a[58:59], v[74:77]// 0000000037C4: D3D7004A 1D2A7522
	ds_read_b128 a[136:139], v58 offset:512                    // 0000000037CC: DBFE0200 8800003A
	v_mfma_i32_16x16x32_i8 v[74:77], a[36:37], a[60:61], v[74:77]// 0000000037D4: D3D7004A 1D2A7924
	s_add_u32 m0, 0x300, s55                                   // 0000000037DC: 807C37FF 00000300
	buffer_load_dword v41, s[4:7], 0 offen lds                 // 0000000037E4: E0511000 80010029
	v_mfma_i32_16x16x32_i8 v[74:77], a[38:39], a[62:63], v[74:77]// 0000000037EC: D3D7004A 1D2A7D26
	ds_read_b128 a[140:143], v58 offset:576                    // 0000000037F4: DBFE0240 8C00003A
	v_mfma_i32_16x16x32_i8 v[78:81], a[40:41], a[56:57], v[78:81]// 0000000037FC: D3D7004E 1D3A7128
	buffer_load_dwordx4 a[24:27], v62, s[8:11], 0 offen        // 000000003804: E05C1000 8082183E
	v_mfma_i32_16x16x32_i8 v[78:81], a[42:43], a[58:59], v[78:81]// 00000000380C: D3D7004E 1D3A752A
	v_mfma_i32_16x16x32_i8 v[78:81], a[44:45], a[60:61], v[78:81]// 000000003814: D3D7004E 1D3A792C
	buffer_load_dwordx4 a[28:31], v63, s[8:11], 0 offen        // 00000000381C: E05C1000 80821C3F
	v_mfma_i32_16x16x32_i8 v[78:81], a[46:47], a[62:63], v[78:81]// 000000003824: D3D7004E 1D3A7D2E
	v_mfma_i32_16x16x32_i8 v[82:85], a[32:33], a[64:65], v[82:85]// 00000000382C: D3D70052 1D4A8120
	s_add_u32 m0, 0x400, s55                                   // 000000003834: 807C37FF 00000400
	buffer_load_dword v42, s[4:7], 0 offen lds                 // 00000000383C: E0511000 8001002A
	v_mfma_i32_16x16x32_i8 v[82:85], a[34:35], a[66:67], v[82:85]// 000000003844: D3D70052 1D4A8522
	ds_read_b128 a[144:147], v58 offset:1024                   // 00000000384C: DBFE0400 9000003A
	v_mfma_i32_16x16x32_i8 v[82:85], a[36:37], a[68:69], v[82:85]// 000000003854: D3D70052 1D4A8924
	s_add_u32 m0, 0x500, s55                                   // 00000000385C: 807C37FF 00000500
	buffer_load_dword v43, s[4:7], 0 offen lds                 // 000000003864: E0511000 8001002B
	v_mfma_i32_16x16x32_i8 v[82:85], a[38:39], a[70:71], v[82:85]// 00000000386C: D3D70052 1D4A8D26
	ds_read_b128 a[148:151], v58 offset:1088                   // 000000003874: DBFE0440 9400003A
	v_mfma_i32_16x16x32_i8 v[86:89], a[40:41], a[64:65], v[86:89]// 00000000387C: D3D70056 1D5A8128
	v_mfma_i32_16x16x32_i8 v[86:89], a[42:43], a[66:67], v[86:89]// 000000003884: D3D70056 1D5A852A
	v_mfma_i32_16x16x32_i8 v[86:89], a[44:45], a[68:69], v[86:89]// 00000000388C: D3D70056 1D5A892C
	v_mfma_i32_16x16x32_i8 v[86:89], a[46:47], a[70:71], v[86:89]// 000000003894: D3D70056 1D5A8D2E
	v_mfma_i32_16x16x32_i8 v[90:93], a[32:33], a[72:73], v[90:93]// 00000000389C: D3D7005A 1D6A9120
	s_add_u32 m0, 0x600, s55                                   // 0000000038A4: 807C37FF 00000600
	buffer_load_dword v44, s[4:7], 0 offen lds                 // 0000000038AC: E0511000 8001002C
	v_mfma_i32_16x16x32_i8 v[90:93], a[34:35], a[74:75], v[90:93]// 0000000038B4: D3D7005A 1D6A9522
	ds_read_b128 a[152:155], v58 offset:1536                   // 0000000038BC: DBFE0600 9800003A
	v_mfma_i32_16x16x32_i8 v[90:93], a[36:37], a[76:77], v[90:93]// 0000000038C4: D3D7005A 1D6A9924
	s_add_u32 m0, 0x700, s55                                   // 0000000038CC: 807C37FF 00000700
	buffer_load_dword v45, s[4:7], 0 offen lds                 // 0000000038D4: E0511000 8001002D
	v_mfma_i32_16x16x32_i8 v[90:93], a[38:39], a[78:79], v[90:93]// 0000000038DC: D3D7005A 1D6A9D26
	ds_read_b128 a[156:159], v58 offset:1600                   // 0000000038E4: DBFE0640 9C00003A
	v_mfma_i32_16x16x32_i8 v[94:97], a[40:41], a[72:73], v[94:97]// 0000000038EC: D3D7005E 1D7A9128
	v_mfma_i32_16x16x32_i8 v[94:97], a[42:43], a[74:75], v[94:97]// 0000000038F4: D3D7005E 1D7A952A
	v_mfma_i32_16x16x32_i8 v[94:97], a[44:45], a[76:77], v[94:97]// 0000000038FC: D3D7005E 1D7A992C
	v_mfma_i32_16x16x32_i8 v[94:97], a[46:47], a[78:79], v[94:97]// 000000003904: D3D7005E 1D7A9D2E
	v_mfma_i32_16x16x32_i8 v[98:101], a[32:33], a[80:81], v[98:101]// 00000000390C: D3D70062 1D8AA120
	s_add_u32 m0, 0x800, s55                                   // 000000003914: 807C37FF 00000800
	buffer_load_dword v46, s[4:7], 0 offen lds                 // 00000000391C: E0511000 8001002E
	v_mfma_i32_16x16x32_i8 v[98:101], a[34:35], a[82:83], v[98:101]// 000000003924: D3D70062 1D8AA522
	ds_read_b128 a[160:163], v58 offset:2048                   // 00000000392C: DBFE0800 A000003A
	v_mfma_i32_16x16x32_i8 v[98:101], a[36:37], a[84:85], v[98:101]// 000000003934: D3D70062 1D8AA924
	s_add_u32 m0, 0x900, s55                                   // 00000000393C: 807C37FF 00000900
	buffer_load_dword v47, s[4:7], 0 offen lds                 // 000000003944: E0511000 8001002F
	v_mfma_i32_16x16x32_i8 v[98:101], a[38:39], a[86:87], v[98:101]// 00000000394C: D3D70062 1D8AAD26
	ds_read_b128 a[164:167], v58 offset:2112                   // 000000003954: DBFE0840 A400003A
	v_mfma_i32_16x16x32_i8 v[102:105], a[40:41], a[80:81], v[102:105]// 00000000395C: D3D70066 1D9AA128
	v_mfma_i32_16x16x32_i8 v[102:105], a[42:43], a[82:83], v[102:105]// 000000003964: D3D70066 1D9AA52A
	v_mfma_i32_16x16x32_i8 v[102:105], a[44:45], a[84:85], v[102:105]// 00000000396C: D3D70066 1D9AA92C
	v_mfma_i32_16x16x32_i8 v[102:105], a[46:47], a[86:87], v[102:105]// 000000003974: D3D70066 1D9AAD2E
	v_mfma_i32_16x16x32_i8 v[106:109], a[32:33], a[88:89], v[106:109]// 00000000397C: D3D7006A 1DAAB120
	s_add_u32 m0, 0xa00, s55                                   // 000000003984: 807C37FF 00000A00
	buffer_load_dword v48, s[4:7], 0 offen lds                 // 00000000398C: E0511000 80010030
	v_mfma_i32_16x16x32_i8 v[106:109], a[34:35], a[90:91], v[106:109]// 000000003994: D3D7006A 1DAAB522
	ds_read_b128 a[168:171], v58 offset:2560                   // 00000000399C: DBFE0A00 A800003A
	v_mfma_i32_16x16x32_i8 v[106:109], a[36:37], a[92:93], v[106:109]// 0000000039A4: D3D7006A 1DAAB924
	s_add_u32 m0, 0xb00, s55                                   // 0000000039AC: 807C37FF 00000B00
	buffer_load_dword v49, s[4:7], 0 offen lds                 // 0000000039B4: E0511000 80010031
	v_mfma_i32_16x16x32_i8 v[106:109], a[38:39], a[94:95], v[106:109]// 0000000039BC: D3D7006A 1DAABD26
	ds_read_b128 a[172:175], v58 offset:2624                   // 0000000039C4: DBFE0A40 AC00003A
	v_mfma_i32_16x16x32_i8 v[110:113], a[40:41], a[88:89], v[110:113]// 0000000039CC: D3D7006E 1DBAB128
	v_mfma_i32_16x16x32_i8 v[110:113], a[42:43], a[90:91], v[110:113]// 0000000039D4: D3D7006E 1DBAB52A
	v_mfma_i32_16x16x32_i8 v[110:113], a[44:45], a[92:93], v[110:113]// 0000000039DC: D3D7006E 1DBAB92C
	v_mfma_i32_16x16x32_i8 v[110:113], a[46:47], a[94:95], v[110:113]// 0000000039E4: D3D7006E 1DBABD2E
	v_mfma_i32_16x16x32_i8 v[114:117], a[32:33], a[96:97], v[114:117]// 0000000039EC: D3D70072 1DCAC120
	s_add_u32 m0, 0xc00, s55                                   // 0000000039F4: 807C37FF 00000C00
	buffer_load_dword v50, s[4:7], 0 offen lds                 // 0000000039FC: E0511000 80010032
	v_mfma_i32_16x16x32_i8 v[114:117], a[34:35], a[98:99], v[114:117]// 000000003A04: D3D70072 1DCAC522
	ds_read_b128 a[176:179], v58 offset:3072                   // 000000003A0C: DBFE0C00 B000003A
	v_mfma_i32_16x16x32_i8 v[114:117], a[36:37], a[100:101], v[114:117]// 000000003A14: D3D70072 1DCAC924
	s_add_u32 m0, 0xd00, s55                                   // 000000003A1C: 807C37FF 00000D00
	buffer_load_dword v51, s[4:7], 0 offen lds                 // 000000003A24: E0511000 80010033
	v_mfma_i32_16x16x32_i8 v[114:117], a[38:39], a[102:103], v[114:117]// 000000003A2C: D3D70072 1DCACD26
	ds_read_b128 a[180:183], v58 offset:3136                   // 000000003A34: DBFE0C40 B400003A
	v_mfma_i32_16x16x32_i8 v[118:121], a[40:41], a[96:97], v[118:121]// 000000003A3C: D3D70076 1DDAC128
	v_mfma_i32_16x16x32_i8 v[118:121], a[42:43], a[98:99], v[118:121]// 000000003A44: D3D70076 1DDAC52A
	v_mfma_i32_16x16x32_i8 v[118:121], a[44:45], a[100:101], v[118:121]// 000000003A4C: D3D70076 1DDAC92C
	v_mfma_i32_16x16x32_i8 v[118:121], a[46:47], a[102:103], v[118:121]// 000000003A54: D3D70076 1DDACD2E
	v_mfma_i32_16x16x32_i8 v[122:125], a[32:33], a[104:105], v[122:125]// 000000003A5C: D3D7007A 1DEAD120
	s_add_u32 m0, 0xe00, s55                                   // 000000003A64: 807C37FF 00000E00
	buffer_load_dword v52, s[4:7], 0 offen lds                 // 000000003A6C: E0511000 80010034
	v_mfma_i32_16x16x32_i8 v[122:125], a[34:35], a[106:107], v[122:125]// 000000003A74: D3D7007A 1DEAD522
	ds_read_b128 a[184:187], v58 offset:3584                   // 000000003A7C: DBFE0E00 B800003A
	v_mfma_i32_16x16x32_i8 v[122:125], a[36:37], a[108:109], v[122:125]// 000000003A84: D3D7007A 1DEAD924
	s_add_u32 m0, 0xf00, s55                                   // 000000003A8C: 807C37FF 00000F00
	buffer_load_dword v53, s[4:7], 0 offen lds                 // 000000003A94: E0511000 80010035
	v_mfma_i32_16x16x32_i8 v[122:125], a[38:39], a[110:111], v[122:125]// 000000003A9C: D3D7007A 1DEADD26
	ds_read_b128 a[188:191], v58 offset:3648                   // 000000003AA4: DBFE0E40 BC00003A
	v_mfma_i32_16x16x32_i8 v[126:129], a[40:41], a[104:105], v[126:129]// 000000003AAC: D3D7007E 1DFAD128
	v_mfma_i32_16x16x32_i8 v[126:129], a[42:43], a[106:107], v[126:129]// 000000003AB4: D3D7007E 1DFAD52A
	v_mfma_i32_16x16x32_i8 v[126:129], a[44:45], a[108:109], v[126:129]// 000000003ABC: D3D7007E 1DFAD92C
	v_mfma_i32_16x16x32_i8 v[126:129], a[46:47], a[110:111], v[126:129]// 000000003AC4: D3D7007E 1DFADD2E
	v_mfma_i32_16x16x32_i8 v[130:133], a[32:33], a[112:113], v[130:133]// 000000003ACC: D3D70082 1E0AE120
	s_add_u32 m0, 0x1000, s55                                  // 000000003AD4: 807C37FF 00001000
	buffer_load_dword v54, s[4:7], 0 offen lds                 // 000000003ADC: E0511000 80010036
	v_mfma_i32_16x16x32_i8 v[130:133], a[34:35], a[114:115], v[130:133]// 000000003AE4: D3D70082 1E0AE522
	ds_read_b128 a[192:195], v58 offset:4096                   // 000000003AEC: DBFE1000 C000003A
	v_mfma_i32_16x16x32_i8 v[130:133], a[36:37], a[116:117], v[130:133]// 000000003AF4: D3D70082 1E0AE924
	s_add_u32 m0, 0x1100, s55                                  // 000000003AFC: 807C37FF 00001100
	buffer_load_dword v55, s[4:7], 0 offen lds                 // 000000003B04: E0511000 80010037
	v_mfma_i32_16x16x32_i8 v[130:133], a[38:39], a[118:119], v[130:133]// 000000003B0C: D3D70082 1E0AED26
	ds_read_b128 a[196:199], v58 offset:4160                   // 000000003B14: DBFE1040 C400003A
	v_mfma_i32_16x16x32_i8 v[134:137], a[40:41], a[112:113], v[134:137]// 000000003B1C: D3D70086 1E1AE128
	v_mfma_i32_16x16x32_i8 v[134:137], a[42:43], a[114:115], v[134:137]// 000000003B24: D3D70086 1E1AE52A
	v_mfma_i32_16x16x32_i8 v[134:137], a[44:45], a[116:117], v[134:137]// 000000003B2C: D3D70086 1E1AE92C
	v_mfma_i32_16x16x32_i8 v[134:137], a[46:47], a[118:119], v[134:137]// 000000003B34: D3D70086 1E1AED2E
	v_mfma_i32_16x16x32_i8 v[138:141], a[32:33], a[120:121], v[138:141]// 000000003B3C: D3D7008A 1E2AF120
	s_add_u32 m0, 0x1200, s55                                  // 000000003B44: 807C37FF 00001200
	buffer_load_dword v56, s[4:7], 0 offen lds                 // 000000003B4C: E0511000 80010038
	v_mfma_i32_16x16x32_i8 v[138:141], a[34:35], a[122:123], v[138:141]// 000000003B54: D3D7008A 1E2AF522
	ds_read_b128 a[200:203], v58 offset:4608                   // 000000003B5C: DBFE1200 C800003A
	v_mfma_i32_16x16x32_i8 v[138:141], a[36:37], a[124:125], v[138:141]// 000000003B64: D3D7008A 1E2AF924
	s_add_u32 m0, 0x1300, s55                                  // 000000003B6C: 807C37FF 00001300
	buffer_load_dword v57, s[4:7], 0 offen lds                 // 000000003B74: E0511000 80010039
	v_mfma_i32_16x16x32_i8 v[138:141], a[38:39], a[126:127], v[138:141]// 000000003B7C: D3D7008A 1E2AFD26
	ds_read_b128 a[204:207], v58 offset:4672                   // 000000003B84: DBFE1240 CC00003A
	v_mfma_i32_16x16x32_i8 v[142:145], a[40:41], a[120:121], v[142:145]// 000000003B8C: D3D7008E 1E3AF128
	v_mfma_i32_16x16x32_i8 v[142:145], a[42:43], a[122:123], v[142:145]// 000000003B94: D3D7008E 1E3AF52A
	s_add_u32 s47, 0x200, s39                                  // 000000003B9C: 802F27FF 00000200
	s_cmp_lt_u32 s47, s40                                      // 000000003BA4: BF0A282F
	s_cselect_b32 s51, s51, 0                                  // 000000003BA8: 85338033
	s_add_u32 s47, 0x180, s39                                  // 000000003BAC: 802F27FF 00000180
	s_cmp_lt_u32 s47, s40                                      // 000000003BB4: BF0A282F
	s_cselect_b32 s52, s52, 0                                  // 000000003BB8: 85348034
	v_mfma_i32_16x16x32_i8 v[142:145], a[44:45], a[124:125], v[142:145]// 000000003BBC: D3D7008E 1E3AF92C
	v_mfma_i32_16x16x32_i8 v[142:145], a[46:47], a[126:127], v[142:145]// 000000003BC4: D3D7008E 1E3AFD2E
	s_add_u32 s4, s51, s4                                      // 000000003BCC: 80040433
	s_addc_u32 s5, 0, s5                                       // 000000003BD0: 82050580
	s_sub_u32 s6, s6, s51                                      // 000000003BD4: 80863306
	s_add_u32 s8, s52, s8                                      // 000000003BD8: 80080834
	s_addc_u32 s9, 0, s9                                       // 000000003BDC: 82090980
	s_sub_u32 s10, s10, s52                                    // 000000003BE0: 808A340A
	s_addk_i32 s39, 0x80                                       // 000000003BE4: B7270080
	s_cmp_lt_i32 s39, s40                                      // 000000003BE8: BF042827
	s_cbranch_scc0 label_0A93                                  // 000000003BEC: BF840397
	s_waitcnt vmcnt(24) lgkmcnt(0)                             // 000000003BF0: BF8C4078
	s_barrier                                                  // 000000003BF4: BF8A0000
	v_mfma_i32_16x16x32_i8 v[66:69], a[0:1], a[128:129], v[66:69]// 000000003BF8: D3D70042 1D0B0100
	s_add_u32 m0, 0, s53                                       // 000000003C00: 807C3580
	buffer_load_dword v38, s[4:7], 0 offen lds                 // 000000003C04: E0511000 80010026
	v_mfma_i32_16x16x32_i8 v[66:69], a[2:3], a[130:131], v[66:69]// 000000003C0C: D3D70042 1D0B0502
	ds_read_b128 a[48:51], v58 offset:20608                    // 000000003C14: DBFE5080 3000003A
	v_mfma_i32_16x16x32_i8 v[66:69], a[4:5], a[132:133], v[66:69]// 000000003C1C: D3D70042 1D0B0904
	s_add_u32 m0, 0x100, s53                                   // 000000003C24: 807C35FF 00000100
	buffer_load_dword v39, s[4:7], 0 offen lds                 // 000000003C2C: E0511000 80010027
	v_mfma_i32_16x16x32_i8 v[66:69], a[6:7], a[134:135], v[66:69]// 000000003C34: D3D70042 1D0B0D06
	ds_read_b128 a[52:55], v58 offset:20672                    // 000000003C3C: DBFE50C0 3400003A
	v_mfma_i32_16x16x32_i8 v[70:73], a[8:9], a[128:129], v[70:73]// 000000003C44: D3D70046 1D1B0108
	buffer_load_dwordx4 a[32:35], v60, s[8:11], 0 offen        // 000000003C4C: E05C1000 8082203C
	v_mfma_i32_16x16x32_i8 v[70:73], a[10:11], a[130:131], v[70:73]// 000000003C54: D3D70046 1D1B050A
	v_mfma_i32_16x16x32_i8 v[70:73], a[12:13], a[132:133], v[70:73]// 000000003C5C: D3D70046 1D1B090C
	buffer_load_dwordx4 a[36:39], v61, s[8:11], 0 offen        // 000000003C64: E05C1000 8082243D
	v_mfma_i32_16x16x32_i8 v[70:73], a[14:15], a[134:135], v[70:73]// 000000003C6C: D3D70046 1D1B0D0E
	v_mfma_i32_16x16x32_i8 v[74:77], a[0:1], a[136:137], v[74:77]// 000000003C74: D3D7004A 1D2B1100
	s_add_u32 m0, 0x200, s53                                   // 000000003C7C: 807C35FF 00000200
	buffer_load_dword v40, s[4:7], 0 offen lds                 // 000000003C84: E0511000 80010028
	v_mfma_i32_16x16x32_i8 v[74:77], a[2:3], a[138:139], v[74:77]// 000000003C8C: D3D7004A 1D2B1502
	ds_read_b128 a[56:59], v58 offset:21120                    // 000000003C94: DBFE5280 3800003A
	v_mfma_i32_16x16x32_i8 v[74:77], a[4:5], a[140:141], v[74:77]// 000000003C9C: D3D7004A 1D2B1904
	s_add_u32 m0, 0x300, s53                                   // 000000003CA4: 807C35FF 00000300
	buffer_load_dword v41, s[4:7], 0 offen lds                 // 000000003CAC: E0511000 80010029
	v_mfma_i32_16x16x32_i8 v[74:77], a[6:7], a[142:143], v[74:77]// 000000003CB4: D3D7004A 1D2B1D06
	ds_read_b128 a[60:63], v58 offset:21184                    // 000000003CBC: DBFE52C0 3C00003A
	v_mfma_i32_16x16x32_i8 v[78:81], a[8:9], a[136:137], v[78:81]// 000000003CC4: D3D7004E 1D3B1108
	buffer_load_dwordx4 a[40:43], v62, s[8:11], 0 offen        // 000000003CCC: E05C1000 8082283E
	v_mfma_i32_16x16x32_i8 v[78:81], a[10:11], a[138:139], v[78:81]// 000000003CD4: D3D7004E 1D3B150A
	v_mfma_i32_16x16x32_i8 v[78:81], a[12:13], a[140:141], v[78:81]// 000000003CDC: D3D7004E 1D3B190C
	buffer_load_dwordx4 a[44:47], v63, s[8:11], 0 offen        // 000000003CE4: E05C1000 80822C3F
	v_mfma_i32_16x16x32_i8 v[78:81], a[14:15], a[142:143], v[78:81]// 000000003CEC: D3D7004E 1D3B1D0E
	v_mfma_i32_16x16x32_i8 v[82:85], a[0:1], a[144:145], v[82:85]// 000000003CF4: D3D70052 1D4B2100
	s_add_u32 m0, 0x400, s53                                   // 000000003CFC: 807C35FF 00000400
	buffer_load_dword v42, s[4:7], 0 offen lds                 // 000000003D04: E0511000 8001002A
	v_mfma_i32_16x16x32_i8 v[82:85], a[2:3], a[146:147], v[82:85]// 000000003D0C: D3D70052 1D4B2502
	ds_read_b128 a[64:67], v58 offset:21632                    // 000000003D14: DBFE5480 4000003A
	v_mfma_i32_16x16x32_i8 v[82:85], a[4:5], a[148:149], v[82:85]// 000000003D1C: D3D70052 1D4B2904
	s_add_u32 m0, 0x500, s53                                   // 000000003D24: 807C35FF 00000500
	buffer_load_dword v43, s[4:7], 0 offen lds                 // 000000003D2C: E0511000 8001002B
	v_mfma_i32_16x16x32_i8 v[82:85], a[6:7], a[150:151], v[82:85]// 000000003D34: D3D70052 1D4B2D06
	ds_read_b128 a[68:71], v58 offset:21696                    // 000000003D3C: DBFE54C0 4400003A
	v_mfma_i32_16x16x32_i8 v[86:89], a[8:9], a[144:145], v[86:89]// 000000003D44: D3D70056 1D5B2108
	v_mfma_i32_16x16x32_i8 v[86:89], a[10:11], a[146:147], v[86:89]// 000000003D4C: D3D70056 1D5B250A
	v_mfma_i32_16x16x32_i8 v[86:89], a[12:13], a[148:149], v[86:89]// 000000003D54: D3D70056 1D5B290C
	v_mfma_i32_16x16x32_i8 v[86:89], a[14:15], a[150:151], v[86:89]// 000000003D5C: D3D70056 1D5B2D0E
	v_mfma_i32_16x16x32_i8 v[90:93], a[0:1], a[152:153], v[90:93]// 000000003D64: D3D7005A 1D6B3100
	s_add_u32 m0, 0x600, s53                                   // 000000003D6C: 807C35FF 00000600
	buffer_load_dword v44, s[4:7], 0 offen lds                 // 000000003D74: E0511000 8001002C
	v_mfma_i32_16x16x32_i8 v[90:93], a[2:3], a[154:155], v[90:93]// 000000003D7C: D3D7005A 1D6B3502
	ds_read_b128 a[72:75], v58 offset:22144                    // 000000003D84: DBFE5680 4800003A
	v_mfma_i32_16x16x32_i8 v[90:93], a[4:5], a[156:157], v[90:93]// 000000003D8C: D3D7005A 1D6B3904
	s_add_u32 m0, 0x700, s53                                   // 000000003D94: 807C35FF 00000700
	buffer_load_dword v45, s[4:7], 0 offen lds                 // 000000003D9C: E0511000 8001002D
	v_mfma_i32_16x16x32_i8 v[90:93], a[6:7], a[158:159], v[90:93]// 000000003DA4: D3D7005A 1D6B3D06
	ds_read_b128 a[76:79], v58 offset:22208                    // 000000003DAC: DBFE56C0 4C00003A
	v_mfma_i32_16x16x32_i8 v[94:97], a[8:9], a[152:153], v[94:97]// 000000003DB4: D3D7005E 1D7B3108
	v_mfma_i32_16x16x32_i8 v[94:97], a[10:11], a[154:155], v[94:97]// 000000003DBC: D3D7005E 1D7B350A
	v_mfma_i32_16x16x32_i8 v[94:97], a[12:13], a[156:157], v[94:97]// 000000003DC4: D3D7005E 1D7B390C
	v_mfma_i32_16x16x32_i8 v[94:97], a[14:15], a[158:159], v[94:97]// 000000003DCC: D3D7005E 1D7B3D0E
	v_mfma_i32_16x16x32_i8 v[98:101], a[0:1], a[160:161], v[98:101]// 000000003DD4: D3D70062 1D8B4100
	s_add_u32 m0, 0x800, s53                                   // 000000003DDC: 807C35FF 00000800
	buffer_load_dword v46, s[4:7], 0 offen lds                 // 000000003DE4: E0511000 8001002E
	v_mfma_i32_16x16x32_i8 v[98:101], a[2:3], a[162:163], v[98:101]// 000000003DEC: D3D70062 1D8B4502
	ds_read_b128 a[80:83], v58 offset:22656                    // 000000003DF4: DBFE5880 5000003A
	v_mfma_i32_16x16x32_i8 v[98:101], a[4:5], a[164:165], v[98:101]// 000000003DFC: D3D70062 1D8B4904
	s_add_u32 m0, 0x900, s53                                   // 000000003E04: 807C35FF 00000900
	buffer_load_dword v47, s[4:7], 0 offen lds                 // 000000003E0C: E0511000 8001002F
	v_mfma_i32_16x16x32_i8 v[98:101], a[6:7], a[166:167], v[98:101]// 000000003E14: D3D70062 1D8B4D06
	ds_read_b128 a[84:87], v58 offset:22720                    // 000000003E1C: DBFE58C0 5400003A
	v_mfma_i32_16x16x32_i8 v[102:105], a[8:9], a[160:161], v[102:105]// 000000003E24: D3D70066 1D9B4108
	v_mfma_i32_16x16x32_i8 v[102:105], a[10:11], a[162:163], v[102:105]// 000000003E2C: D3D70066 1D9B450A
	v_mfma_i32_16x16x32_i8 v[102:105], a[12:13], a[164:165], v[102:105]// 000000003E34: D3D70066 1D9B490C
	v_mfma_i32_16x16x32_i8 v[102:105], a[14:15], a[166:167], v[102:105]// 000000003E3C: D3D70066 1D9B4D0E
	v_mfma_i32_16x16x32_i8 v[106:109], a[0:1], a[168:169], v[106:109]// 000000003E44: D3D7006A 1DAB5100
	s_add_u32 m0, 0xa00, s53                                   // 000000003E4C: 807C35FF 00000A00
	buffer_load_dword v48, s[4:7], 0 offen lds                 // 000000003E54: E0511000 80010030
	v_mfma_i32_16x16x32_i8 v[106:109], a[2:3], a[170:171], v[106:109]// 000000003E5C: D3D7006A 1DAB5502
	ds_read_b128 a[88:91], v58 offset:23168                    // 000000003E64: DBFE5A80 5800003A
	v_mfma_i32_16x16x32_i8 v[106:109], a[4:5], a[172:173], v[106:109]// 000000003E6C: D3D7006A 1DAB5904
	s_add_u32 m0, 0xb00, s53                                   // 000000003E74: 807C35FF 00000B00
	buffer_load_dword v49, s[4:7], 0 offen lds                 // 000000003E7C: E0511000 80010031
	v_mfma_i32_16x16x32_i8 v[106:109], a[6:7], a[174:175], v[106:109]// 000000003E84: D3D7006A 1DAB5D06
	ds_read_b128 a[92:95], v58 offset:23232                    // 000000003E8C: DBFE5AC0 5C00003A
	v_mfma_i32_16x16x32_i8 v[110:113], a[8:9], a[168:169], v[110:113]// 000000003E94: D3D7006E 1DBB5108
	v_mfma_i32_16x16x32_i8 v[110:113], a[10:11], a[170:171], v[110:113]// 000000003E9C: D3D7006E 1DBB550A
	v_mfma_i32_16x16x32_i8 v[110:113], a[12:13], a[172:173], v[110:113]// 000000003EA4: D3D7006E 1DBB590C
	v_mfma_i32_16x16x32_i8 v[110:113], a[14:15], a[174:175], v[110:113]// 000000003EAC: D3D7006E 1DBB5D0E
	v_mfma_i32_16x16x32_i8 v[114:117], a[0:1], a[176:177], v[114:117]// 000000003EB4: D3D70072 1DCB6100
	s_add_u32 m0, 0xc00, s53                                   // 000000003EBC: 807C35FF 00000C00
	buffer_load_dword v50, s[4:7], 0 offen lds                 // 000000003EC4: E0511000 80010032
	v_mfma_i32_16x16x32_i8 v[114:117], a[2:3], a[178:179], v[114:117]// 000000003ECC: D3D70072 1DCB6502
	ds_read_b128 a[96:99], v58 offset:23680                    // 000000003ED4: DBFE5C80 6000003A
	v_mfma_i32_16x16x32_i8 v[114:117], a[4:5], a[180:181], v[114:117]// 000000003EDC: D3D70072 1DCB6904
	s_add_u32 m0, 0xd00, s53                                   // 000000003EE4: 807C35FF 00000D00
	buffer_load_dword v51, s[4:7], 0 offen lds                 // 000000003EEC: E0511000 80010033
	v_mfma_i32_16x16x32_i8 v[114:117], a[6:7], a[182:183], v[114:117]// 000000003EF4: D3D70072 1DCB6D06
	ds_read_b128 a[100:103], v58 offset:23744                  // 000000003EFC: DBFE5CC0 6400003A
	v_mfma_i32_16x16x32_i8 v[118:121], a[8:9], a[176:177], v[118:121]// 000000003F04: D3D70076 1DDB6108
	v_mfma_i32_16x16x32_i8 v[118:121], a[10:11], a[178:179], v[118:121]// 000000003F0C: D3D70076 1DDB650A
	v_mfma_i32_16x16x32_i8 v[118:121], a[12:13], a[180:181], v[118:121]// 000000003F14: D3D70076 1DDB690C
	v_mfma_i32_16x16x32_i8 v[118:121], a[14:15], a[182:183], v[118:121]// 000000003F1C: D3D70076 1DDB6D0E
	v_mfma_i32_16x16x32_i8 v[122:125], a[0:1], a[184:185], v[122:125]// 000000003F24: D3D7007A 1DEB7100
	s_add_u32 m0, 0xe00, s53                                   // 000000003F2C: 807C35FF 00000E00
	buffer_load_dword v52, s[4:7], 0 offen lds                 // 000000003F34: E0511000 80010034
	v_mfma_i32_16x16x32_i8 v[122:125], a[2:3], a[186:187], v[122:125]// 000000003F3C: D3D7007A 1DEB7502
	ds_read_b128 a[104:107], v58 offset:24192                  // 000000003F44: DBFE5E80 6800003A
	v_mfma_i32_16x16x32_i8 v[122:125], a[4:5], a[188:189], v[122:125]// 000000003F4C: D3D7007A 1DEB7904
	s_add_u32 m0, 0xf00, s53                                   // 000000003F54: 807C35FF 00000F00
	buffer_load_dword v53, s[4:7], 0 offen lds                 // 000000003F5C: E0511000 80010035
	v_mfma_i32_16x16x32_i8 v[122:125], a[6:7], a[190:191], v[122:125]// 000000003F64: D3D7007A 1DEB7D06
	ds_read_b128 a[108:111], v58 offset:24256                  // 000000003F6C: DBFE5EC0 6C00003A
	v_mfma_i32_16x16x32_i8 v[126:129], a[8:9], a[184:185], v[126:129]// 000000003F74: D3D7007E 1DFB7108
	v_mfma_i32_16x16x32_i8 v[126:129], a[10:11], a[186:187], v[126:129]// 000000003F7C: D3D7007E 1DFB750A
	v_mfma_i32_16x16x32_i8 v[126:129], a[12:13], a[188:189], v[126:129]// 000000003F84: D3D7007E 1DFB790C
	v_mfma_i32_16x16x32_i8 v[126:129], a[14:15], a[190:191], v[126:129]// 000000003F8C: D3D7007E 1DFB7D0E
	v_mfma_i32_16x16x32_i8 v[130:133], a[0:1], a[192:193], v[130:133]// 000000003F94: D3D70082 1E0B8100
	s_add_u32 m0, 0x1000, s53                                  // 000000003F9C: 807C35FF 00001000
	buffer_load_dword v54, s[4:7], 0 offen lds                 // 000000003FA4: E0511000 80010036
	v_mfma_i32_16x16x32_i8 v[130:133], a[2:3], a[194:195], v[130:133]// 000000003FAC: D3D70082 1E0B8502
	ds_read_b128 a[112:115], v58 offset:24704                  // 000000003FB4: DBFE6080 7000003A
	v_mfma_i32_16x16x32_i8 v[130:133], a[4:5], a[196:197], v[130:133]// 000000003FBC: D3D70082 1E0B8904
	s_add_u32 m0, 0x1100, s53                                  // 000000003FC4: 807C35FF 00001100
	buffer_load_dword v55, s[4:7], 0 offen lds                 // 000000003FCC: E0511000 80010037
	v_mfma_i32_16x16x32_i8 v[130:133], a[6:7], a[198:199], v[130:133]// 000000003FD4: D3D70082 1E0B8D06
	ds_read_b128 a[116:119], v58 offset:24768                  // 000000003FDC: DBFE60C0 7400003A
	v_mfma_i32_16x16x32_i8 v[134:137], a[8:9], a[192:193], v[134:137]// 000000003FE4: D3D70086 1E1B8108
	v_mfma_i32_16x16x32_i8 v[134:137], a[10:11], a[194:195], v[134:137]// 000000003FEC: D3D70086 1E1B850A
	v_mfma_i32_16x16x32_i8 v[134:137], a[12:13], a[196:197], v[134:137]// 000000003FF4: D3D70086 1E1B890C
	v_mfma_i32_16x16x32_i8 v[134:137], a[14:15], a[198:199], v[134:137]// 000000003FFC: D3D70086 1E1B8D0E
	v_mfma_i32_16x16x32_i8 v[138:141], a[0:1], a[200:201], v[138:141]// 000000004004: D3D7008A 1E2B9100
	s_add_u32 m0, 0x1200, s53                                  // 00000000400C: 807C35FF 00001200
	buffer_load_dword v56, s[4:7], 0 offen lds                 // 000000004014: E0511000 80010038
	v_mfma_i32_16x16x32_i8 v[138:141], a[2:3], a[202:203], v[138:141]// 00000000401C: D3D7008A 1E2B9502
	ds_read_b128 a[120:123], v58 offset:25216                  // 000000004024: DBFE6280 7800003A
	v_mfma_i32_16x16x32_i8 v[138:141], a[4:5], a[204:205], v[138:141]// 00000000402C: D3D7008A 1E2B9904
	s_add_u32 m0, 0x1300, s53                                  // 000000004034: 807C35FF 00001300
	buffer_load_dword v57, s[4:7], 0 offen lds                 // 00000000403C: E0511000 80010039
	v_mfma_i32_16x16x32_i8 v[138:141], a[6:7], a[206:207], v[138:141]// 000000004044: D3D7008A 1E2B9D06
	ds_read_b128 a[124:127], v58 offset:25280                  // 00000000404C: DBFE62C0 7C00003A
	v_mfma_i32_16x16x32_i8 v[142:145], a[8:9], a[200:201], v[142:145]// 000000004054: D3D7008E 1E3B9108
	v_mfma_i32_16x16x32_i8 v[142:145], a[10:11], a[202:203], v[142:145]// 00000000405C: D3D7008E 1E3B950A
	s_add_u32 s47, 0x200, s39                                  // 000000004064: 802F27FF 00000200
	s_cmp_lt_u32 s47, s40                                      // 00000000406C: BF0A282F
	s_cselect_b32 s51, s51, 0                                  // 000000004070: 85338033
	s_add_u32 s47, 0x180, s39                                  // 000000004074: 802F27FF 00000180
	s_cmp_lt_u32 s47, s40                                      // 00000000407C: BF0A282F
	s_cselect_b32 s52, s52, 0                                  // 000000004080: 85348034
	v_mfma_i32_16x16x32_i8 v[142:145], a[12:13], a[204:205], v[142:145]// 000000004084: D3D7008E 1E3B990C
	v_mfma_i32_16x16x32_i8 v[142:145], a[14:15], a[206:207], v[142:145]// 00000000408C: D3D7008E 1E3B9D0E
	s_add_u32 s4, s51, s4                                      // 000000004094: 80040433
	s_addc_u32 s5, 0, s5                                       // 000000004098: 82050580
	s_sub_u32 s6, s6, s51                                      // 00000000409C: 80863306
	s_add_u32 s8, s52, s8                                      // 0000000040A0: 80080834
	s_addc_u32 s9, 0, s9                                       // 0000000040A4: 82090980
	s_sub_u32 s10, s10, s52                                    // 0000000040A8: 808A340A
	s_addk_i32 s39, 0x80                                       // 0000000040AC: B7270080
	s_cmp_lt_i32 s39, s40                                      // 0000000040B0: BF042827
	s_cbranch_scc0 label_0A93                                  // 0000000040B4: BF840265
	s_waitcnt vmcnt(24) lgkmcnt(0)                             // 0000000040B8: BF8C4078
	s_barrier                                                  // 0000000040BC: BF8A0000
	v_mfma_i32_16x16x32_i8 v[66:69], a[16:17], a[48:49], v[66:69]// 0000000040C0: D3D70042 1D0A6110
	s_add_u32 m0, 0, s54                                       // 0000000040C8: 807C3680
	buffer_load_dword v38, s[4:7], 0 offen lds                 // 0000000040CC: E0511000 80010026
	v_mfma_i32_16x16x32_i8 v[66:69], a[18:19], a[50:51], v[66:69]// 0000000040D4: D3D70042 1D0A6512
	ds_read_b128 a[128:131], v58 offset:41216                  // 0000000040DC: DBFEA100 8000003A
	v_mfma_i32_16x16x32_i8 v[66:69], a[20:21], a[52:53], v[66:69]// 0000000040E4: D3D70042 1D0A6914
	s_add_u32 m0, 0x100, s54                                   // 0000000040EC: 807C36FF 00000100
	buffer_load_dword v39, s[4:7], 0 offen lds                 // 0000000040F4: E0511000 80010027
	v_mfma_i32_16x16x32_i8 v[66:69], a[22:23], a[54:55], v[66:69]// 0000000040FC: D3D70042 1D0A6D16
	ds_read_b128 a[132:135], v58 offset:41280                  // 000000004104: DBFEA140 8400003A
	v_mfma_i32_16x16x32_i8 v[70:73], a[24:25], a[48:49], v[70:73]// 00000000410C: D3D70046 1D1A6118
	buffer_load_dwordx4 a[0:3], v60, s[8:11], 0 offen          // 000000004114: E05C1000 8082003C
	v_mfma_i32_16x16x32_i8 v[70:73], a[26:27], a[50:51], v[70:73]// 00000000411C: D3D70046 1D1A651A
	v_mfma_i32_16x16x32_i8 v[70:73], a[28:29], a[52:53], v[70:73]// 000000004124: D3D70046 1D1A691C
	buffer_load_dwordx4 a[4:7], v61, s[8:11], 0 offen          // 00000000412C: E05C1000 8082043D
	v_mfma_i32_16x16x32_i8 v[70:73], a[30:31], a[54:55], v[70:73]// 000000004134: D3D70046 1D1A6D1E
	v_mfma_i32_16x16x32_i8 v[74:77], a[16:17], a[56:57], v[74:77]// 00000000413C: D3D7004A 1D2A7110
	s_add_u32 m0, 0x200, s54                                   // 000000004144: 807C36FF 00000200
	buffer_load_dword v40, s[4:7], 0 offen lds                 // 00000000414C: E0511000 80010028
	v_mfma_i32_16x16x32_i8 v[74:77], a[18:19], a[58:59], v[74:77]// 000000004154: D3D7004A 1D2A7512
	ds_read_b128 a[136:139], v58 offset:41728                  // 00000000415C: DBFEA300 8800003A
	v_mfma_i32_16x16x32_i8 v[74:77], a[20:21], a[60:61], v[74:77]// 000000004164: D3D7004A 1D2A7914
	s_add_u32 m0, 0x300, s54                                   // 00000000416C: 807C36FF 00000300
	buffer_load_dword v41, s[4:7], 0 offen lds                 // 000000004174: E0511000 80010029
	v_mfma_i32_16x16x32_i8 v[74:77], a[22:23], a[62:63], v[74:77]// 00000000417C: D3D7004A 1D2A7D16
	ds_read_b128 a[140:143], v58 offset:41792                  // 000000004184: DBFEA340 8C00003A
	v_mfma_i32_16x16x32_i8 v[78:81], a[24:25], a[56:57], v[78:81]// 00000000418C: D3D7004E 1D3A7118
	buffer_load_dwordx4 a[8:11], v62, s[8:11], 0 offen         // 000000004194: E05C1000 8082083E
	v_mfma_i32_16x16x32_i8 v[78:81], a[26:27], a[58:59], v[78:81]// 00000000419C: D3D7004E 1D3A751A
	v_mfma_i32_16x16x32_i8 v[78:81], a[28:29], a[60:61], v[78:81]// 0000000041A4: D3D7004E 1D3A791C
	buffer_load_dwordx4 a[12:15], v63, s[8:11], 0 offen        // 0000000041AC: E05C1000 80820C3F
	v_mfma_i32_16x16x32_i8 v[78:81], a[30:31], a[62:63], v[78:81]// 0000000041B4: D3D7004E 1D3A7D1E
	v_mfma_i32_16x16x32_i8 v[82:85], a[16:17], a[64:65], v[82:85]// 0000000041BC: D3D70052 1D4A8110
	s_add_u32 m0, 0x400, s54                                   // 0000000041C4: 807C36FF 00000400
	buffer_load_dword v42, s[4:7], 0 offen lds                 // 0000000041CC: E0511000 8001002A
	v_mfma_i32_16x16x32_i8 v[82:85], a[18:19], a[66:67], v[82:85]// 0000000041D4: D3D70052 1D4A8512
	ds_read_b128 a[144:147], v58 offset:42240                  // 0000000041DC: DBFEA500 9000003A
	v_mfma_i32_16x16x32_i8 v[82:85], a[20:21], a[68:69], v[82:85]// 0000000041E4: D3D70052 1D4A8914
	s_add_u32 m0, 0x500, s54                                   // 0000000041EC: 807C36FF 00000500
	buffer_load_dword v43, s[4:7], 0 offen lds                 // 0000000041F4: E0511000 8001002B
	v_mfma_i32_16x16x32_i8 v[82:85], a[22:23], a[70:71], v[82:85]// 0000000041FC: D3D70052 1D4A8D16
	ds_read_b128 a[148:151], v58 offset:42304                  // 000000004204: DBFEA540 9400003A
	v_mfma_i32_16x16x32_i8 v[86:89], a[24:25], a[64:65], v[86:89]// 00000000420C: D3D70056 1D5A8118
	v_mfma_i32_16x16x32_i8 v[86:89], a[26:27], a[66:67], v[86:89]// 000000004214: D3D70056 1D5A851A
	v_mfma_i32_16x16x32_i8 v[86:89], a[28:29], a[68:69], v[86:89]// 00000000421C: D3D70056 1D5A891C
	v_mfma_i32_16x16x32_i8 v[86:89], a[30:31], a[70:71], v[86:89]// 000000004224: D3D70056 1D5A8D1E
	v_mfma_i32_16x16x32_i8 v[90:93], a[16:17], a[72:73], v[90:93]// 00000000422C: D3D7005A 1D6A9110
	s_add_u32 m0, 0x600, s54                                   // 000000004234: 807C36FF 00000600
	buffer_load_dword v44, s[4:7], 0 offen lds                 // 00000000423C: E0511000 8001002C
	v_mfma_i32_16x16x32_i8 v[90:93], a[18:19], a[74:75], v[90:93]// 000000004244: D3D7005A 1D6A9512
	ds_read_b128 a[152:155], v58 offset:42752                  // 00000000424C: DBFEA700 9800003A
	v_mfma_i32_16x16x32_i8 v[90:93], a[20:21], a[76:77], v[90:93]// 000000004254: D3D7005A 1D6A9914
	s_add_u32 m0, 0x700, s54                                   // 00000000425C: 807C36FF 00000700
	buffer_load_dword v45, s[4:7], 0 offen lds                 // 000000004264: E0511000 8001002D
	v_mfma_i32_16x16x32_i8 v[90:93], a[22:23], a[78:79], v[90:93]// 00000000426C: D3D7005A 1D6A9D16
	ds_read_b128 a[156:159], v58 offset:42816                  // 000000004274: DBFEA740 9C00003A
	v_mfma_i32_16x16x32_i8 v[94:97], a[24:25], a[72:73], v[94:97]// 00000000427C: D3D7005E 1D7A9118
	v_mfma_i32_16x16x32_i8 v[94:97], a[26:27], a[74:75], v[94:97]// 000000004284: D3D7005E 1D7A951A
	v_mfma_i32_16x16x32_i8 v[94:97], a[28:29], a[76:77], v[94:97]// 00000000428C: D3D7005E 1D7A991C
	v_mfma_i32_16x16x32_i8 v[94:97], a[30:31], a[78:79], v[94:97]// 000000004294: D3D7005E 1D7A9D1E
	v_mfma_i32_16x16x32_i8 v[98:101], a[16:17], a[80:81], v[98:101]// 00000000429C: D3D70062 1D8AA110
	s_add_u32 m0, 0x800, s54                                   // 0000000042A4: 807C36FF 00000800
	buffer_load_dword v46, s[4:7], 0 offen lds                 // 0000000042AC: E0511000 8001002E
	v_mfma_i32_16x16x32_i8 v[98:101], a[18:19], a[82:83], v[98:101]// 0000000042B4: D3D70062 1D8AA512
	ds_read_b128 a[160:163], v58 offset:43264                  // 0000000042BC: DBFEA900 A000003A
	v_mfma_i32_16x16x32_i8 v[98:101], a[20:21], a[84:85], v[98:101]// 0000000042C4: D3D70062 1D8AA914
	s_add_u32 m0, 0x900, s54                                   // 0000000042CC: 807C36FF 00000900
	buffer_load_dword v47, s[4:7], 0 offen lds                 // 0000000042D4: E0511000 8001002F
	v_mfma_i32_16x16x32_i8 v[98:101], a[22:23], a[86:87], v[98:101]// 0000000042DC: D3D70062 1D8AAD16
	ds_read_b128 a[164:167], v58 offset:43328                  // 0000000042E4: DBFEA940 A400003A
	v_mfma_i32_16x16x32_i8 v[102:105], a[24:25], a[80:81], v[102:105]// 0000000042EC: D3D70066 1D9AA118
	v_mfma_i32_16x16x32_i8 v[102:105], a[26:27], a[82:83], v[102:105]// 0000000042F4: D3D70066 1D9AA51A
	v_mfma_i32_16x16x32_i8 v[102:105], a[28:29], a[84:85], v[102:105]// 0000000042FC: D3D70066 1D9AA91C
	v_mfma_i32_16x16x32_i8 v[102:105], a[30:31], a[86:87], v[102:105]// 000000004304: D3D70066 1D9AAD1E
	v_mfma_i32_16x16x32_i8 v[106:109], a[16:17], a[88:89], v[106:109]// 00000000430C: D3D7006A 1DAAB110
	s_add_u32 m0, 0xa00, s54                                   // 000000004314: 807C36FF 00000A00
	buffer_load_dword v48, s[4:7], 0 offen lds                 // 00000000431C: E0511000 80010030
	v_mfma_i32_16x16x32_i8 v[106:109], a[18:19], a[90:91], v[106:109]// 000000004324: D3D7006A 1DAAB512
	ds_read_b128 a[168:171], v58 offset:43776                  // 00000000432C: DBFEAB00 A800003A
	v_mfma_i32_16x16x32_i8 v[106:109], a[20:21], a[92:93], v[106:109]// 000000004334: D3D7006A 1DAAB914
	s_add_u32 m0, 0xb00, s54                                   // 00000000433C: 807C36FF 00000B00
	buffer_load_dword v49, s[4:7], 0 offen lds                 // 000000004344: E0511000 80010031
	v_mfma_i32_16x16x32_i8 v[106:109], a[22:23], a[94:95], v[106:109]// 00000000434C: D3D7006A 1DAABD16
	ds_read_b128 a[172:175], v58 offset:43840                  // 000000004354: DBFEAB40 AC00003A
	v_mfma_i32_16x16x32_i8 v[110:113], a[24:25], a[88:89], v[110:113]// 00000000435C: D3D7006E 1DBAB118
	v_mfma_i32_16x16x32_i8 v[110:113], a[26:27], a[90:91], v[110:113]// 000000004364: D3D7006E 1DBAB51A
	v_mfma_i32_16x16x32_i8 v[110:113], a[28:29], a[92:93], v[110:113]// 00000000436C: D3D7006E 1DBAB91C
	v_mfma_i32_16x16x32_i8 v[110:113], a[30:31], a[94:95], v[110:113]// 000000004374: D3D7006E 1DBABD1E
	v_mfma_i32_16x16x32_i8 v[114:117], a[16:17], a[96:97], v[114:117]// 00000000437C: D3D70072 1DCAC110
	s_add_u32 m0, 0xc00, s54                                   // 000000004384: 807C36FF 00000C00
	buffer_load_dword v50, s[4:7], 0 offen lds                 // 00000000438C: E0511000 80010032
	v_mfma_i32_16x16x32_i8 v[114:117], a[18:19], a[98:99], v[114:117]// 000000004394: D3D70072 1DCAC512
	ds_read_b128 a[176:179], v58 offset:44288                  // 00000000439C: DBFEAD00 B000003A
	v_mfma_i32_16x16x32_i8 v[114:117], a[20:21], a[100:101], v[114:117]// 0000000043A4: D3D70072 1DCAC914
	s_add_u32 m0, 0xd00, s54                                   // 0000000043AC: 807C36FF 00000D00
	buffer_load_dword v51, s[4:7], 0 offen lds                 // 0000000043B4: E0511000 80010033
	v_mfma_i32_16x16x32_i8 v[114:117], a[22:23], a[102:103], v[114:117]// 0000000043BC: D3D70072 1DCACD16
	ds_read_b128 a[180:183], v58 offset:44352                  // 0000000043C4: DBFEAD40 B400003A
	v_mfma_i32_16x16x32_i8 v[118:121], a[24:25], a[96:97], v[118:121]// 0000000043CC: D3D70076 1DDAC118
	v_mfma_i32_16x16x32_i8 v[118:121], a[26:27], a[98:99], v[118:121]// 0000000043D4: D3D70076 1DDAC51A
	v_mfma_i32_16x16x32_i8 v[118:121], a[28:29], a[100:101], v[118:121]// 0000000043DC: D3D70076 1DDAC91C
	v_mfma_i32_16x16x32_i8 v[118:121], a[30:31], a[102:103], v[118:121]// 0000000043E4: D3D70076 1DDACD1E
	v_mfma_i32_16x16x32_i8 v[122:125], a[16:17], a[104:105], v[122:125]// 0000000043EC: D3D7007A 1DEAD110
	s_add_u32 m0, 0xe00, s54                                   // 0000000043F4: 807C36FF 00000E00
	buffer_load_dword v52, s[4:7], 0 offen lds                 // 0000000043FC: E0511000 80010034
	v_mfma_i32_16x16x32_i8 v[122:125], a[18:19], a[106:107], v[122:125]// 000000004404: D3D7007A 1DEAD512
	ds_read_b128 a[184:187], v58 offset:44800                  // 00000000440C: DBFEAF00 B800003A
	v_mfma_i32_16x16x32_i8 v[122:125], a[20:21], a[108:109], v[122:125]// 000000004414: D3D7007A 1DEAD914
	s_add_u32 m0, 0xf00, s54                                   // 00000000441C: 807C36FF 00000F00
	buffer_load_dword v53, s[4:7], 0 offen lds                 // 000000004424: E0511000 80010035
	v_mfma_i32_16x16x32_i8 v[122:125], a[22:23], a[110:111], v[122:125]// 00000000442C: D3D7007A 1DEADD16
	ds_read_b128 a[188:191], v58 offset:44864                  // 000000004434: DBFEAF40 BC00003A
	v_mfma_i32_16x16x32_i8 v[126:129], a[24:25], a[104:105], v[126:129]// 00000000443C: D3D7007E 1DFAD118
	v_mfma_i32_16x16x32_i8 v[126:129], a[26:27], a[106:107], v[126:129]// 000000004444: D3D7007E 1DFAD51A
	v_mfma_i32_16x16x32_i8 v[126:129], a[28:29], a[108:109], v[126:129]// 00000000444C: D3D7007E 1DFAD91C
	v_mfma_i32_16x16x32_i8 v[126:129], a[30:31], a[110:111], v[126:129]// 000000004454: D3D7007E 1DFADD1E
	v_mfma_i32_16x16x32_i8 v[130:133], a[16:17], a[112:113], v[130:133]// 00000000445C: D3D70082 1E0AE110
	s_add_u32 m0, 0x1000, s54                                  // 000000004464: 807C36FF 00001000
	buffer_load_dword v54, s[4:7], 0 offen lds                 // 00000000446C: E0511000 80010036
	v_mfma_i32_16x16x32_i8 v[130:133], a[18:19], a[114:115], v[130:133]// 000000004474: D3D70082 1E0AE512
	ds_read_b128 a[192:195], v58 offset:45312                  // 00000000447C: DBFEB100 C000003A
	v_mfma_i32_16x16x32_i8 v[130:133], a[20:21], a[116:117], v[130:133]// 000000004484: D3D70082 1E0AE914
	s_add_u32 m0, 0x1100, s54                                  // 00000000448C: 807C36FF 00001100
	buffer_load_dword v55, s[4:7], 0 offen lds                 // 000000004494: E0511000 80010037
	v_mfma_i32_16x16x32_i8 v[130:133], a[22:23], a[118:119], v[130:133]// 00000000449C: D3D70082 1E0AED16
	ds_read_b128 a[196:199], v58 offset:45376                  // 0000000044A4: DBFEB140 C400003A
	v_mfma_i32_16x16x32_i8 v[134:137], a[24:25], a[112:113], v[134:137]// 0000000044AC: D3D70086 1E1AE118
	v_mfma_i32_16x16x32_i8 v[134:137], a[26:27], a[114:115], v[134:137]// 0000000044B4: D3D70086 1E1AE51A
	v_mfma_i32_16x16x32_i8 v[134:137], a[28:29], a[116:117], v[134:137]// 0000000044BC: D3D70086 1E1AE91C
	v_mfma_i32_16x16x32_i8 v[134:137], a[30:31], a[118:119], v[134:137]// 0000000044C4: D3D70086 1E1AED1E
	v_mfma_i32_16x16x32_i8 v[138:141], a[16:17], a[120:121], v[138:141]// 0000000044CC: D3D7008A 1E2AF110
	s_add_u32 m0, 0x1200, s54                                  // 0000000044D4: 807C36FF 00001200
	buffer_load_dword v56, s[4:7], 0 offen lds                 // 0000000044DC: E0511000 80010038
	v_mfma_i32_16x16x32_i8 v[138:141], a[18:19], a[122:123], v[138:141]// 0000000044E4: D3D7008A 1E2AF512
	ds_read_b128 a[200:203], v58 offset:45824                  // 0000000044EC: DBFEB300 C800003A
	v_mfma_i32_16x16x32_i8 v[138:141], a[20:21], a[124:125], v[138:141]// 0000000044F4: D3D7008A 1E2AF914
	s_add_u32 m0, 0x1300, s54                                  // 0000000044FC: 807C36FF 00001300
	buffer_load_dword v57, s[4:7], 0 offen lds                 // 000000004504: E0511000 80010039
	v_mfma_i32_16x16x32_i8 v[138:141], a[22:23], a[126:127], v[138:141]// 00000000450C: D3D7008A 1E2AFD16
	ds_read_b128 a[204:207], v58 offset:45888                  // 000000004514: DBFEB340 CC00003A
	v_mfma_i32_16x16x32_i8 v[142:145], a[24:25], a[120:121], v[142:145]// 00000000451C: D3D7008E 1E3AF118
	v_mfma_i32_16x16x32_i8 v[142:145], a[26:27], a[122:123], v[142:145]// 000000004524: D3D7008E 1E3AF51A
	s_add_u32 s47, 0x200, s39                                  // 00000000452C: 802F27FF 00000200
	s_cmp_lt_u32 s47, s40                                      // 000000004534: BF0A282F
	s_cselect_b32 s51, s51, 0                                  // 000000004538: 85338033
	s_add_u32 s47, 0x180, s39                                  // 00000000453C: 802F27FF 00000180
	s_cmp_lt_u32 s47, s40                                      // 000000004544: BF0A282F
	s_cselect_b32 s52, s52, 0                                  // 000000004548: 85348034
	v_mfma_i32_16x16x32_i8 v[142:145], a[28:29], a[124:125], v[142:145]// 00000000454C: D3D7008E 1E3AF91C
	v_mfma_i32_16x16x32_i8 v[142:145], a[30:31], a[126:127], v[142:145]// 000000004554: D3D7008E 1E3AFD1E
	s_add_u32 s4, s51, s4                                      // 00000000455C: 80040433
	s_addc_u32 s5, 0, s5                                       // 000000004560: 82050580
	s_sub_u32 s6, s6, s51                                      // 000000004564: 80863306
	s_add_u32 s8, s52, s8                                      // 000000004568: 80080834
	s_addc_u32 s9, 0, s9                                       // 00000000456C: 82090980
	s_sub_u32 s10, s10, s52                                    // 000000004570: 808A340A
	s_addk_i32 s39, 0x80                                       // 000000004574: B7270080
	s_cmp_lt_i32 s39, s40                                      // 000000004578: BF042827
	s_cbranch_scc0 label_0A93                                  // 00000000457C: BF840133
	s_waitcnt vmcnt(24) lgkmcnt(0)                             // 000000004580: BF8C4078
	s_barrier                                                  // 000000004584: BF8A0000
	v_mfma_i32_16x16x32_i8 v[66:69], a[32:33], a[128:129], v[66:69]// 000000004588: D3D70042 1D0B0120
	s_add_u32 m0, 0, s55                                       // 000000004590: 807C3780
	buffer_load_dword v38, s[4:7], 0 offen lds                 // 000000004594: E0511000 80010026
	v_mfma_i32_16x16x32_i8 v[66:69], a[34:35], a[130:131], v[66:69]// 00000000459C: D3D70042 1D0B0522
	ds_read_b128 a[48:51], v58                                 // 0000000045A4: DBFE0000 3000003A
	v_mfma_i32_16x16x32_i8 v[66:69], a[36:37], a[132:133], v[66:69]// 0000000045AC: D3D70042 1D0B0924
	s_add_u32 m0, 0x100, s55                                   // 0000000045B4: 807C37FF 00000100
	buffer_load_dword v39, s[4:7], 0 offen lds                 // 0000000045BC: E0511000 80010027
	v_mfma_i32_16x16x32_i8 v[66:69], a[38:39], a[134:135], v[66:69]// 0000000045C4: D3D70042 1D0B0D26
	ds_read_b128 a[52:55], v58 offset:64                       // 0000000045CC: DBFE0040 3400003A
	v_mfma_i32_16x16x32_i8 v[70:73], a[40:41], a[128:129], v[70:73]// 0000000045D4: D3D70046 1D1B0128
	buffer_load_dwordx4 a[16:19], v60, s[8:11], 0 offen        // 0000000045DC: E05C1000 8082103C
	v_mfma_i32_16x16x32_i8 v[70:73], a[42:43], a[130:131], v[70:73]// 0000000045E4: D3D70046 1D1B052A
	v_mfma_i32_16x16x32_i8 v[70:73], a[44:45], a[132:133], v[70:73]// 0000000045EC: D3D70046 1D1B092C
	buffer_load_dwordx4 a[20:23], v61, s[8:11], 0 offen        // 0000000045F4: E05C1000 8082143D
	v_mfma_i32_16x16x32_i8 v[70:73], a[46:47], a[134:135], v[70:73]// 0000000045FC: D3D70046 1D1B0D2E
	v_mfma_i32_16x16x32_i8 v[74:77], a[32:33], a[136:137], v[74:77]// 000000004604: D3D7004A 1D2B1120
	s_add_u32 m0, 0x200, s55                                   // 00000000460C: 807C37FF 00000200
	buffer_load_dword v40, s[4:7], 0 offen lds                 // 000000004614: E0511000 80010028
	v_mfma_i32_16x16x32_i8 v[74:77], a[34:35], a[138:139], v[74:77]// 00000000461C: D3D7004A 1D2B1522
	ds_read_b128 a[56:59], v58 offset:512                      // 000000004624: DBFE0200 3800003A
	v_mfma_i32_16x16x32_i8 v[74:77], a[36:37], a[140:141], v[74:77]// 00000000462C: D3D7004A 1D2B1924
	s_add_u32 m0, 0x300, s55                                   // 000000004634: 807C37FF 00000300
	buffer_load_dword v41, s[4:7], 0 offen lds                 // 00000000463C: E0511000 80010029
	v_mfma_i32_16x16x32_i8 v[74:77], a[38:39], a[142:143], v[74:77]// 000000004644: D3D7004A 1D2B1D26
	ds_read_b128 a[60:63], v58 offset:576                      // 00000000464C: DBFE0240 3C00003A
	v_mfma_i32_16x16x32_i8 v[78:81], a[40:41], a[136:137], v[78:81]// 000000004654: D3D7004E 1D3B1128
	buffer_load_dwordx4 a[24:27], v62, s[8:11], 0 offen        // 00000000465C: E05C1000 8082183E
	v_mfma_i32_16x16x32_i8 v[78:81], a[42:43], a[138:139], v[78:81]// 000000004664: D3D7004E 1D3B152A
	v_mfma_i32_16x16x32_i8 v[78:81], a[44:45], a[140:141], v[78:81]// 00000000466C: D3D7004E 1D3B192C
	buffer_load_dwordx4 a[28:31], v63, s[8:11], 0 offen        // 000000004674: E05C1000 80821C3F
	v_mfma_i32_16x16x32_i8 v[78:81], a[46:47], a[142:143], v[78:81]// 00000000467C: D3D7004E 1D3B1D2E
	v_mfma_i32_16x16x32_i8 v[82:85], a[32:33], a[144:145], v[82:85]// 000000004684: D3D70052 1D4B2120
	s_add_u32 m0, 0x400, s55                                   // 00000000468C: 807C37FF 00000400
	buffer_load_dword v42, s[4:7], 0 offen lds                 // 000000004694: E0511000 8001002A
	v_mfma_i32_16x16x32_i8 v[82:85], a[34:35], a[146:147], v[82:85]// 00000000469C: D3D70052 1D4B2522
	ds_read_b128 a[64:67], v58 offset:1024                     // 0000000046A4: DBFE0400 4000003A
	v_mfma_i32_16x16x32_i8 v[82:85], a[36:37], a[148:149], v[82:85]// 0000000046AC: D3D70052 1D4B2924
	s_add_u32 m0, 0x500, s55                                   // 0000000046B4: 807C37FF 00000500
	buffer_load_dword v43, s[4:7], 0 offen lds                 // 0000000046BC: E0511000 8001002B
	v_mfma_i32_16x16x32_i8 v[82:85], a[38:39], a[150:151], v[82:85]// 0000000046C4: D3D70052 1D4B2D26
	ds_read_b128 a[68:71], v58 offset:1088                     // 0000000046CC: DBFE0440 4400003A
	v_mfma_i32_16x16x32_i8 v[86:89], a[40:41], a[144:145], v[86:89]// 0000000046D4: D3D70056 1D5B2128
	v_mfma_i32_16x16x32_i8 v[86:89], a[42:43], a[146:147], v[86:89]// 0000000046DC: D3D70056 1D5B252A
	v_mfma_i32_16x16x32_i8 v[86:89], a[44:45], a[148:149], v[86:89]// 0000000046E4: D3D70056 1D5B292C
	v_mfma_i32_16x16x32_i8 v[86:89], a[46:47], a[150:151], v[86:89]// 0000000046EC: D3D70056 1D5B2D2E
	v_mfma_i32_16x16x32_i8 v[90:93], a[32:33], a[152:153], v[90:93]// 0000000046F4: D3D7005A 1D6B3120
	s_add_u32 m0, 0x600, s55                                   // 0000000046FC: 807C37FF 00000600
	buffer_load_dword v44, s[4:7], 0 offen lds                 // 000000004704: E0511000 8001002C
	v_mfma_i32_16x16x32_i8 v[90:93], a[34:35], a[154:155], v[90:93]// 00000000470C: D3D7005A 1D6B3522
	ds_read_b128 a[72:75], v58 offset:1536                     // 000000004714: DBFE0600 4800003A
	v_mfma_i32_16x16x32_i8 v[90:93], a[36:37], a[156:157], v[90:93]// 00000000471C: D3D7005A 1D6B3924
	s_add_u32 m0, 0x700, s55                                   // 000000004724: 807C37FF 00000700
	buffer_load_dword v45, s[4:7], 0 offen lds                 // 00000000472C: E0511000 8001002D
	v_mfma_i32_16x16x32_i8 v[90:93], a[38:39], a[158:159], v[90:93]// 000000004734: D3D7005A 1D6B3D26
	ds_read_b128 a[76:79], v58 offset:1600                     // 00000000473C: DBFE0640 4C00003A
	v_mfma_i32_16x16x32_i8 v[94:97], a[40:41], a[152:153], v[94:97]// 000000004744: D3D7005E 1D7B3128
	v_mfma_i32_16x16x32_i8 v[94:97], a[42:43], a[154:155], v[94:97]// 00000000474C: D3D7005E 1D7B352A
	v_mfma_i32_16x16x32_i8 v[94:97], a[44:45], a[156:157], v[94:97]// 000000004754: D3D7005E 1D7B392C
	v_mfma_i32_16x16x32_i8 v[94:97], a[46:47], a[158:159], v[94:97]// 00000000475C: D3D7005E 1D7B3D2E
	v_mfma_i32_16x16x32_i8 v[98:101], a[32:33], a[160:161], v[98:101]// 000000004764: D3D70062 1D8B4120
	s_add_u32 m0, 0x800, s55                                   // 00000000476C: 807C37FF 00000800
	buffer_load_dword v46, s[4:7], 0 offen lds                 // 000000004774: E0511000 8001002E
	v_mfma_i32_16x16x32_i8 v[98:101], a[34:35], a[162:163], v[98:101]// 00000000477C: D3D70062 1D8B4522
	ds_read_b128 a[80:83], v58 offset:2048                     // 000000004784: DBFE0800 5000003A
	v_mfma_i32_16x16x32_i8 v[98:101], a[36:37], a[164:165], v[98:101]// 00000000478C: D3D70062 1D8B4924
	s_add_u32 m0, 0x900, s55                                   // 000000004794: 807C37FF 00000900
	buffer_load_dword v47, s[4:7], 0 offen lds                 // 00000000479C: E0511000 8001002F
	v_mfma_i32_16x16x32_i8 v[98:101], a[38:39], a[166:167], v[98:101]// 0000000047A4: D3D70062 1D8B4D26
	ds_read_b128 a[84:87], v58 offset:2112                     // 0000000047AC: DBFE0840 5400003A
	v_mfma_i32_16x16x32_i8 v[102:105], a[40:41], a[160:161], v[102:105]// 0000000047B4: D3D70066 1D9B4128
	v_mfma_i32_16x16x32_i8 v[102:105], a[42:43], a[162:163], v[102:105]// 0000000047BC: D3D70066 1D9B452A
	v_mfma_i32_16x16x32_i8 v[102:105], a[44:45], a[164:165], v[102:105]// 0000000047C4: D3D70066 1D9B492C
	v_mfma_i32_16x16x32_i8 v[102:105], a[46:47], a[166:167], v[102:105]// 0000000047CC: D3D70066 1D9B4D2E
	v_mfma_i32_16x16x32_i8 v[106:109], a[32:33], a[168:169], v[106:109]// 0000000047D4: D3D7006A 1DAB5120
	s_add_u32 m0, 0xa00, s55                                   // 0000000047DC: 807C37FF 00000A00
	buffer_load_dword v48, s[4:7], 0 offen lds                 // 0000000047E4: E0511000 80010030
	v_mfma_i32_16x16x32_i8 v[106:109], a[34:35], a[170:171], v[106:109]// 0000000047EC: D3D7006A 1DAB5522
	ds_read_b128 a[88:91], v58 offset:2560                     // 0000000047F4: DBFE0A00 5800003A
	v_mfma_i32_16x16x32_i8 v[106:109], a[36:37], a[172:173], v[106:109]// 0000000047FC: D3D7006A 1DAB5924
	s_add_u32 m0, 0xb00, s55                                   // 000000004804: 807C37FF 00000B00
	buffer_load_dword v49, s[4:7], 0 offen lds                 // 00000000480C: E0511000 80010031
	v_mfma_i32_16x16x32_i8 v[106:109], a[38:39], a[174:175], v[106:109]// 000000004814: D3D7006A 1DAB5D26
	ds_read_b128 a[92:95], v58 offset:2624                     // 00000000481C: DBFE0A40 5C00003A
	v_mfma_i32_16x16x32_i8 v[110:113], a[40:41], a[168:169], v[110:113]// 000000004824: D3D7006E 1DBB5128
	v_mfma_i32_16x16x32_i8 v[110:113], a[42:43], a[170:171], v[110:113]// 00000000482C: D3D7006E 1DBB552A
	v_mfma_i32_16x16x32_i8 v[110:113], a[44:45], a[172:173], v[110:113]// 000000004834: D3D7006E 1DBB592C
	v_mfma_i32_16x16x32_i8 v[110:113], a[46:47], a[174:175], v[110:113]// 00000000483C: D3D7006E 1DBB5D2E
	v_mfma_i32_16x16x32_i8 v[114:117], a[32:33], a[176:177], v[114:117]// 000000004844: D3D70072 1DCB6120
	s_add_u32 m0, 0xc00, s55                                   // 00000000484C: 807C37FF 00000C00
	buffer_load_dword v50, s[4:7], 0 offen lds                 // 000000004854: E0511000 80010032
	v_mfma_i32_16x16x32_i8 v[114:117], a[34:35], a[178:179], v[114:117]// 00000000485C: D3D70072 1DCB6522
	ds_read_b128 a[96:99], v58 offset:3072                     // 000000004864: DBFE0C00 6000003A
	v_mfma_i32_16x16x32_i8 v[114:117], a[36:37], a[180:181], v[114:117]// 00000000486C: D3D70072 1DCB6924
	s_add_u32 m0, 0xd00, s55                                   // 000000004874: 807C37FF 00000D00
	buffer_load_dword v51, s[4:7], 0 offen lds                 // 00000000487C: E0511000 80010033
	v_mfma_i32_16x16x32_i8 v[114:117], a[38:39], a[182:183], v[114:117]// 000000004884: D3D70072 1DCB6D26
	ds_read_b128 a[100:103], v58 offset:3136                   // 00000000488C: DBFE0C40 6400003A
	v_mfma_i32_16x16x32_i8 v[118:121], a[40:41], a[176:177], v[118:121]// 000000004894: D3D70076 1DDB6128
	v_mfma_i32_16x16x32_i8 v[118:121], a[42:43], a[178:179], v[118:121]// 00000000489C: D3D70076 1DDB652A
	v_mfma_i32_16x16x32_i8 v[118:121], a[44:45], a[180:181], v[118:121]// 0000000048A4: D3D70076 1DDB692C
	v_mfma_i32_16x16x32_i8 v[118:121], a[46:47], a[182:183], v[118:121]// 0000000048AC: D3D70076 1DDB6D2E
	v_mfma_i32_16x16x32_i8 v[122:125], a[32:33], a[184:185], v[122:125]// 0000000048B4: D3D7007A 1DEB7120
	s_add_u32 m0, 0xe00, s55                                   // 0000000048BC: 807C37FF 00000E00
	buffer_load_dword v52, s[4:7], 0 offen lds                 // 0000000048C4: E0511000 80010034
	v_mfma_i32_16x16x32_i8 v[122:125], a[34:35], a[186:187], v[122:125]// 0000000048CC: D3D7007A 1DEB7522
	ds_read_b128 a[104:107], v58 offset:3584                   // 0000000048D4: DBFE0E00 6800003A
	v_mfma_i32_16x16x32_i8 v[122:125], a[36:37], a[188:189], v[122:125]// 0000000048DC: D3D7007A 1DEB7924
	s_add_u32 m0, 0xf00, s55                                   // 0000000048E4: 807C37FF 00000F00
	buffer_load_dword v53, s[4:7], 0 offen lds                 // 0000000048EC: E0511000 80010035
	v_mfma_i32_16x16x32_i8 v[122:125], a[38:39], a[190:191], v[122:125]// 0000000048F4: D3D7007A 1DEB7D26
	ds_read_b128 a[108:111], v58 offset:3648                   // 0000000048FC: DBFE0E40 6C00003A
	v_mfma_i32_16x16x32_i8 v[126:129], a[40:41], a[184:185], v[126:129]// 000000004904: D3D7007E 1DFB7128
	v_mfma_i32_16x16x32_i8 v[126:129], a[42:43], a[186:187], v[126:129]// 00000000490C: D3D7007E 1DFB752A
	v_mfma_i32_16x16x32_i8 v[126:129], a[44:45], a[188:189], v[126:129]// 000000004914: D3D7007E 1DFB792C
	v_mfma_i32_16x16x32_i8 v[126:129], a[46:47], a[190:191], v[126:129]// 00000000491C: D3D7007E 1DFB7D2E
	v_mfma_i32_16x16x32_i8 v[130:133], a[32:33], a[192:193], v[130:133]// 000000004924: D3D70082 1E0B8120
	s_add_u32 m0, 0x1000, s55                                  // 00000000492C: 807C37FF 00001000
	buffer_load_dword v54, s[4:7], 0 offen lds                 // 000000004934: E0511000 80010036
	v_mfma_i32_16x16x32_i8 v[130:133], a[34:35], a[194:195], v[130:133]// 00000000493C: D3D70082 1E0B8522
	ds_read_b128 a[112:115], v58 offset:4096                   // 000000004944: DBFE1000 7000003A
	v_mfma_i32_16x16x32_i8 v[130:133], a[36:37], a[196:197], v[130:133]// 00000000494C: D3D70082 1E0B8924
	s_add_u32 m0, 0x1100, s55                                  // 000000004954: 807C37FF 00001100
	buffer_load_dword v55, s[4:7], 0 offen lds                 // 00000000495C: E0511000 80010037
	v_mfma_i32_16x16x32_i8 v[130:133], a[38:39], a[198:199], v[130:133]// 000000004964: D3D70082 1E0B8D26
	ds_read_b128 a[116:119], v58 offset:4160                   // 00000000496C: DBFE1040 7400003A
	v_mfma_i32_16x16x32_i8 v[134:137], a[40:41], a[192:193], v[134:137]// 000000004974: D3D70086 1E1B8128
	v_mfma_i32_16x16x32_i8 v[134:137], a[42:43], a[194:195], v[134:137]// 00000000497C: D3D70086 1E1B852A
	v_mfma_i32_16x16x32_i8 v[134:137], a[44:45], a[196:197], v[134:137]// 000000004984: D3D70086 1E1B892C
	v_mfma_i32_16x16x32_i8 v[134:137], a[46:47], a[198:199], v[134:137]// 00000000498C: D3D70086 1E1B8D2E
	v_mfma_i32_16x16x32_i8 v[138:141], a[32:33], a[200:201], v[138:141]// 000000004994: D3D7008A 1E2B9120
	s_add_u32 m0, 0x1200, s55                                  // 00000000499C: 807C37FF 00001200
	buffer_load_dword v56, s[4:7], 0 offen lds                 // 0000000049A4: E0511000 80010038
	v_mfma_i32_16x16x32_i8 v[138:141], a[34:35], a[202:203], v[138:141]// 0000000049AC: D3D7008A 1E2B9522
	ds_read_b128 a[120:123], v58 offset:4608                   // 0000000049B4: DBFE1200 7800003A
	v_mfma_i32_16x16x32_i8 v[138:141], a[36:37], a[204:205], v[138:141]// 0000000049BC: D3D7008A 1E2B9924
	s_add_u32 m0, 0x1300, s55                                  // 0000000049C4: 807C37FF 00001300
	buffer_load_dword v57, s[4:7], 0 offen lds                 // 0000000049CC: E0511000 80010039
	v_mfma_i32_16x16x32_i8 v[138:141], a[38:39], a[206:207], v[138:141]// 0000000049D4: D3D7008A 1E2B9D26
	ds_read_b128 a[124:127], v58 offset:4672                   // 0000000049DC: DBFE1240 7C00003A
	v_mfma_i32_16x16x32_i8 v[142:145], a[40:41], a[200:201], v[142:145]// 0000000049E4: D3D7008E 1E3B9128
	v_mfma_i32_16x16x32_i8 v[142:145], a[42:43], a[202:203], v[142:145]// 0000000049EC: D3D7008E 1E3B952A
	s_add_u32 s47, 0x200, s39                                  // 0000000049F4: 802F27FF 00000200
	s_cmp_lt_u32 s47, s40                                      // 0000000049FC: BF0A282F
	s_cselect_b32 s51, s51, 0                                  // 000000004A00: 85338033
	s_add_u32 s47, 0x180, s39                                  // 000000004A04: 802F27FF 00000180
	s_cmp_lt_u32 s47, s40                                      // 000000004A0C: BF0A282F
	s_cselect_b32 s52, s52, 0                                  // 000000004A10: 85348034
	v_mfma_i32_16x16x32_i8 v[142:145], a[44:45], a[204:205], v[142:145]// 000000004A14: D3D7008E 1E3B992C
	v_mfma_i32_16x16x32_i8 v[142:145], a[46:47], a[206:207], v[142:145]// 000000004A1C: D3D7008E 1E3B9D2E
	s_add_u32 s4, s51, s4                                      // 000000004A24: 80040433
	s_addc_u32 s5, 0, s5                                       // 000000004A28: 82050580
	s_sub_u32 s6, s6, s51                                      // 000000004A2C: 80863306
	s_add_u32 s8, s52, s8                                      // 000000004A30: 80080834
	s_addc_u32 s9, 0, s9                                       // 000000004A34: 82090980
	s_sub_u32 s10, s10, s52                                    // 000000004A38: 808A340A
	s_addk_i32 s39, 0x80                                       // 000000004A3C: B7270080
	s_cmp_lt_i32 s39, s40                                      // 000000004A40: BF042827
	s_cbranch_scc0 label_0A93                                  // 000000004A44: BF840001
	s_branch label_0366                                        // 000000004A48: BF82F8D3

0000000000004a4c <label_0A93>:
	s_cmp_eq_u32 s38, 1                                        // 000000004A4C: BF068126
	s_cbranch_scc1 label_0DDF                                  // 000000004A50: BF85034A
	v_cvt_f32_i32_e32 v66, v66                                 // 000000004A54: 7E840B42
	v_cvt_f32_i32_e32 v67, v67                                 // 000000004A58: 7E860B43
	v_pk_mul_f32 v[66:67], v[66:67], v[206:207]                // 000000004A5C: D3B14042 18039D42
	v_fma_f32 v66, v66, v186, v220                             // 000000004A64: D1CB0042 07737542
	v_fma_f32 v67, v67, v186, v221                             // 000000004A6C: D1CB0043 07777543
	v_perm_b32 v146, v67, v66, s45                             // 000000004A74: D1ED0092 00B68543
	v_cvt_f32_i32_e32 v68, v68                                 // 000000004A7C: 7E880B44
	v_cvt_f32_i32_e32 v69, v69                                 // 000000004A80: 7E8A0B45
	v_pk_mul_f32 v[68:69], v[68:69], v[208:209]                // 000000004A84: D3B14044 1803A144
	v_fma_f32 v68, v68, v186, v222                             // 000000004A8C: D1CB0044 077B7544
	v_fma_f32 v69, v69, v186, v223                             // 000000004A94: D1CB0045 077F7545
	v_perm_b32 v147, v69, v68, s45                             // 000000004A9C: D1ED0093 00B68945
	v_cvt_f32_i32_e32 v70, v70                                 // 000000004AA4: 7E8C0B46
	v_cvt_f32_i32_e32 v71, v71                                 // 000000004AA8: 7E8E0B47
	v_pk_mul_f32 v[70:71], v[70:71], v[210:211]                // 000000004AAC: D3B14046 1803A546
	v_fma_f32 v70, v70, v186, v224                             // 000000004AB4: D1CB0046 07837546
	v_fma_f32 v71, v71, v186, v225                             // 000000004ABC: D1CB0047 07877547
	v_perm_b32 v148, v71, v70, s45                             // 000000004AC4: D1ED0094 00B68D47
	v_cvt_f32_i32_e32 v72, v72                                 // 000000004ACC: 7E900B48
	v_cvt_f32_i32_e32 v73, v73                                 // 000000004AD0: 7E920B49
	v_pk_mul_f32 v[72:73], v[72:73], v[212:213]                // 000000004AD4: D3B14048 1803A948
	v_fma_f32 v72, v72, v186, v226                             // 000000004ADC: D1CB0048 078B7548
	v_fma_f32 v73, v73, v186, v227                             // 000000004AE4: D1CB0049 078F7549
	v_perm_b32 v149, v73, v72, s45                             // 000000004AEC: D1ED0095 00B69149
	v_cvt_f32_i32_e32 v74, v74                                 // 000000004AF4: 7E940B4A
	v_cvt_f32_i32_e32 v75, v75                                 // 000000004AF8: 7E960B4B
	v_pk_mul_f32 v[74:75], v[74:75], v[206:207]                // 000000004AFC: D3B1404A 18039D4A
	v_fma_f32 v74, v74, v187, v220                             // 000000004B04: D1CB004A 0773774A
	v_fma_f32 v75, v75, v187, v221                             // 000000004B0C: D1CB004B 0777774B
	v_perm_b32 v150, v75, v74, s45                             // 000000004B14: D1ED0096 00B6954B
	v_cvt_f32_i32_e32 v76, v76                                 // 000000004B1C: 7E980B4C
	v_cvt_f32_i32_e32 v77, v77                                 // 000000004B20: 7E9A0B4D
	v_pk_mul_f32 v[76:77], v[76:77], v[208:209]                // 000000004B24: D3B1404C 1803A14C
	v_fma_f32 v76, v76, v187, v222                             // 000000004B2C: D1CB004C 077B774C
	v_fma_f32 v77, v77, v187, v223                             // 000000004B34: D1CB004D 077F774D
	v_perm_b32 v151, v77, v76, s45                             // 000000004B3C: D1ED0097 00B6994D
	v_cvt_f32_i32_e32 v78, v78                                 // 000000004B44: 7E9C0B4E
	v_cvt_f32_i32_e32 v79, v79                                 // 000000004B48: 7E9E0B4F
	v_pk_mul_f32 v[78:79], v[78:79], v[210:211]                // 000000004B4C: D3B1404E 1803A54E
	v_fma_f32 v78, v78, v187, v224                             // 000000004B54: D1CB004E 0783774E
	v_fma_f32 v79, v79, v187, v225                             // 000000004B5C: D1CB004F 0787774F
	v_perm_b32 v152, v79, v78, s45                             // 000000004B64: D1ED0098 00B69D4F
	v_cvt_f32_i32_e32 v80, v80                                 // 000000004B6C: 7EA00B50
	v_cvt_f32_i32_e32 v81, v81                                 // 000000004B70: 7EA20B51
	v_pk_mul_f32 v[80:81], v[80:81], v[212:213]                // 000000004B74: D3B14050 1803A950
	v_fma_f32 v80, v80, v187, v226                             // 000000004B7C: D1CB0050 078B7750
	v_fma_f32 v81, v81, v187, v227                             // 000000004B84: D1CB0051 078F7751
	v_perm_b32 v153, v81, v80, s45                             // 000000004B8C: D1ED0099 00B6A151
	v_cvt_f32_i32_e32 v82, v82                                 // 000000004B94: 7EA40B52
	v_cvt_f32_i32_e32 v83, v83                                 // 000000004B98: 7EA60B53
	v_pk_mul_f32 v[82:83], v[82:83], v[206:207]                // 000000004B9C: D3B14052 18039D52
	v_fma_f32 v82, v82, v188, v220                             // 000000004BA4: D1CB0052 07737952
	v_fma_f32 v83, v83, v188, v221                             // 000000004BAC: D1CB0053 07777953
	v_perm_b32 v154, v83, v82, s45                             // 000000004BB4: D1ED009A 00B6A553
	v_cvt_f32_i32_e32 v84, v84                                 // 000000004BBC: 7EA80B54
	v_cvt_f32_i32_e32 v85, v85                                 // 000000004BC0: 7EAA0B55
	v_pk_mul_f32 v[84:85], v[84:85], v[208:209]                // 000000004BC4: D3B14054 1803A154
	v_fma_f32 v84, v84, v188, v222                             // 000000004BCC: D1CB0054 077B7954
	v_fma_f32 v85, v85, v188, v223                             // 000000004BD4: D1CB0055 077F7955
	v_perm_b32 v155, v85, v84, s45                             // 000000004BDC: D1ED009B 00B6A955
	v_cvt_f32_i32_e32 v86, v86                                 // 000000004BE4: 7EAC0B56
	v_cvt_f32_i32_e32 v87, v87                                 // 000000004BE8: 7EAE0B57
	v_pk_mul_f32 v[86:87], v[86:87], v[210:211]                // 000000004BEC: D3B14056 1803A556
	v_fma_f32 v86, v86, v188, v224                             // 000000004BF4: D1CB0056 07837956
	v_fma_f32 v87, v87, v188, v225                             // 000000004BFC: D1CB0057 07877957
	v_perm_b32 v156, v87, v86, s45                             // 000000004C04: D1ED009C 00B6AD57
	v_cvt_f32_i32_e32 v88, v88                                 // 000000004C0C: 7EB00B58
	v_cvt_f32_i32_e32 v89, v89                                 // 000000004C10: 7EB20B59
	v_pk_mul_f32 v[88:89], v[88:89], v[212:213]                // 000000004C14: D3B14058 1803A958
	v_fma_f32 v88, v88, v188, v226                             // 000000004C1C: D1CB0058 078B7958
	v_fma_f32 v89, v89, v188, v227                             // 000000004C24: D1CB0059 078F7959
	v_perm_b32 v157, v89, v88, s45                             // 000000004C2C: D1ED009D 00B6B159
	v_cvt_f32_i32_e32 v90, v90                                 // 000000004C34: 7EB40B5A
	v_cvt_f32_i32_e32 v91, v91                                 // 000000004C38: 7EB60B5B
	v_pk_mul_f32 v[90:91], v[90:91], v[206:207]                // 000000004C3C: D3B1405A 18039D5A
	v_fma_f32 v90, v90, v189, v220                             // 000000004C44: D1CB005A 07737B5A
	v_fma_f32 v91, v91, v189, v221                             // 000000004C4C: D1CB005B 07777B5B
	v_perm_b32 v158, v91, v90, s45                             // 000000004C54: D1ED009E 00B6B55B
	v_cvt_f32_i32_e32 v92, v92                                 // 000000004C5C: 7EB80B5C
	v_cvt_f32_i32_e32 v93, v93                                 // 000000004C60: 7EBA0B5D
	v_pk_mul_f32 v[92:93], v[92:93], v[208:209]                // 000000004C64: D3B1405C 1803A15C
	v_fma_f32 v92, v92, v189, v222                             // 000000004C6C: D1CB005C 077B7B5C
	v_fma_f32 v93, v93, v189, v223                             // 000000004C74: D1CB005D 077F7B5D
	v_perm_b32 v159, v93, v92, s45                             // 000000004C7C: D1ED009F 00B6B95D
	v_cvt_f32_i32_e32 v94, v94                                 // 000000004C84: 7EBC0B5E
	v_cvt_f32_i32_e32 v95, v95                                 // 000000004C88: 7EBE0B5F
	v_pk_mul_f32 v[94:95], v[94:95], v[210:211]                // 000000004C8C: D3B1405E 1803A55E
	v_fma_f32 v94, v94, v189, v224                             // 000000004C94: D1CB005E 07837B5E
	v_fma_f32 v95, v95, v189, v225                             // 000000004C9C: D1CB005F 07877B5F
	v_perm_b32 v160, v95, v94, s45                             // 000000004CA4: D1ED00A0 00B6BD5F
	v_cvt_f32_i32_e32 v96, v96                                 // 000000004CAC: 7EC00B60
	v_cvt_f32_i32_e32 v97, v97                                 // 000000004CB0: 7EC20B61
	v_pk_mul_f32 v[96:97], v[96:97], v[212:213]                // 000000004CB4: D3B14060 1803A960
	v_fma_f32 v96, v96, v189, v226                             // 000000004CBC: D1CB0060 078B7B60
	v_fma_f32 v97, v97, v189, v227                             // 000000004CC4: D1CB0061 078F7B61
	v_perm_b32 v161, v97, v96, s45                             // 000000004CCC: D1ED00A1 00B6C161
	v_cvt_f32_i32_e32 v98, v98                                 // 000000004CD4: 7EC40B62
	v_cvt_f32_i32_e32 v99, v99                                 // 000000004CD8: 7EC60B63
	v_pk_mul_f32 v[98:99], v[98:99], v[206:207]                // 000000004CDC: D3B14062 18039D62
	v_fma_f32 v98, v98, v190, v220                             // 000000004CE4: D1CB0062 07737D62
	v_fma_f32 v99, v99, v190, v221                             // 000000004CEC: D1CB0063 07777D63
	v_perm_b32 v162, v99, v98, s45                             // 000000004CF4: D1ED00A2 00B6C563
	v_cvt_f32_i32_e32 v100, v100                               // 000000004CFC: 7EC80B64
	v_cvt_f32_i32_e32 v101, v101                               // 000000004D00: 7ECA0B65
	v_pk_mul_f32 v[100:101], v[100:101], v[208:209]            // 000000004D04: D3B14064 1803A164
	v_fma_f32 v100, v100, v190, v222                           // 000000004D0C: D1CB0064 077B7D64
	v_fma_f32 v101, v101, v190, v223                           // 000000004D14: D1CB0065 077F7D65
	v_perm_b32 v163, v101, v100, s45                           // 000000004D1C: D1ED00A3 00B6C965
	v_cvt_f32_i32_e32 v102, v102                               // 000000004D24: 7ECC0B66
	v_cvt_f32_i32_e32 v103, v103                               // 000000004D28: 7ECE0B67
	v_pk_mul_f32 v[102:103], v[102:103], v[210:211]            // 000000004D2C: D3B14066 1803A566
	v_fma_f32 v102, v102, v190, v224                           // 000000004D34: D1CB0066 07837D66
	v_fma_f32 v103, v103, v190, v225                           // 000000004D3C: D1CB0067 07877D67
	v_perm_b32 v164, v103, v102, s45                           // 000000004D44: D1ED00A4 00B6CD67
	v_cvt_f32_i32_e32 v104, v104                               // 000000004D4C: 7ED00B68
	v_cvt_f32_i32_e32 v105, v105                               // 000000004D50: 7ED20B69
	v_pk_mul_f32 v[104:105], v[104:105], v[212:213]            // 000000004D54: D3B14068 1803A968
	v_fma_f32 v104, v104, v190, v226                           // 000000004D5C: D1CB0068 078B7D68
	v_fma_f32 v105, v105, v190, v227                           // 000000004D64: D1CB0069 078F7D69
	v_perm_b32 v165, v105, v104, s45                           // 000000004D6C: D1ED00A5 00B6D169
	v_cvt_f32_i32_e32 v106, v106                               // 000000004D74: 7ED40B6A
	v_cvt_f32_i32_e32 v107, v107                               // 000000004D78: 7ED60B6B
	v_pk_mul_f32 v[106:107], v[106:107], v[206:207]            // 000000004D7C: D3B1406A 18039D6A
	v_fma_f32 v106, v106, v191, v220                           // 000000004D84: D1CB006A 07737F6A
	v_fma_f32 v107, v107, v191, v221                           // 000000004D8C: D1CB006B 07777F6B
	v_perm_b32 v166, v107, v106, s45                           // 000000004D94: D1ED00A6 00B6D56B
	v_cvt_f32_i32_e32 v108, v108                               // 000000004D9C: 7ED80B6C
	v_cvt_f32_i32_e32 v109, v109                               // 000000004DA0: 7EDA0B6D
	v_pk_mul_f32 v[108:109], v[108:109], v[208:209]            // 000000004DA4: D3B1406C 1803A16C
	v_fma_f32 v108, v108, v191, v222                           // 000000004DAC: D1CB006C 077B7F6C
	v_fma_f32 v109, v109, v191, v223                           // 000000004DB4: D1CB006D 077F7F6D
	v_perm_b32 v167, v109, v108, s45                           // 000000004DBC: D1ED00A7 00B6D96D
	v_cvt_f32_i32_e32 v110, v110                               // 000000004DC4: 7EDC0B6E
	v_cvt_f32_i32_e32 v111, v111                               // 000000004DC8: 7EDE0B6F
	v_pk_mul_f32 v[110:111], v[110:111], v[210:211]            // 000000004DCC: D3B1406E 1803A56E
	v_fma_f32 v110, v110, v191, v224                           // 000000004DD4: D1CB006E 07837F6E
	v_fma_f32 v111, v111, v191, v225                           // 000000004DDC: D1CB006F 07877F6F
	v_perm_b32 v168, v111, v110, s45                           // 000000004DE4: D1ED00A8 00B6DD6F
	v_cvt_f32_i32_e32 v112, v112                               // 000000004DEC: 7EE00B70
	v_cvt_f32_i32_e32 v113, v113                               // 000000004DF0: 7EE20B71
	v_pk_mul_f32 v[112:113], v[112:113], v[212:213]            // 000000004DF4: D3B14070 1803A970
	v_fma_f32 v112, v112, v191, v226                           // 000000004DFC: D1CB0070 078B7F70
	v_fma_f32 v113, v113, v191, v227                           // 000000004E04: D1CB0071 078F7F71
	v_perm_b32 v169, v113, v112, s45                           // 000000004E0C: D1ED00A9 00B6E171
	v_cvt_f32_i32_e32 v114, v114                               // 000000004E14: 7EE40B72
	v_cvt_f32_i32_e32 v115, v115                               // 000000004E18: 7EE60B73
	v_pk_mul_f32 v[114:115], v[114:115], v[206:207]            // 000000004E1C: D3B14072 18039D72
	v_fma_f32 v114, v114, v192, v220                           // 000000004E24: D1CB0072 07738172
	v_fma_f32 v115, v115, v192, v221                           // 000000004E2C: D1CB0073 07778173
	v_perm_b32 v170, v115, v114, s45                           // 000000004E34: D1ED00AA 00B6E573
	v_cvt_f32_i32_e32 v116, v116                               // 000000004E3C: 7EE80B74
	v_cvt_f32_i32_e32 v117, v117                               // 000000004E40: 7EEA0B75
	v_pk_mul_f32 v[116:117], v[116:117], v[208:209]            // 000000004E44: D3B14074 1803A174
	v_fma_f32 v116, v116, v192, v222                           // 000000004E4C: D1CB0074 077B8174
	v_fma_f32 v117, v117, v192, v223                           // 000000004E54: D1CB0075 077F8175
	v_perm_b32 v171, v117, v116, s45                           // 000000004E5C: D1ED00AB 00B6E975
	v_cvt_f32_i32_e32 v118, v118                               // 000000004E64: 7EEC0B76
	v_cvt_f32_i32_e32 v119, v119                               // 000000004E68: 7EEE0B77
	v_pk_mul_f32 v[118:119], v[118:119], v[210:211]            // 000000004E6C: D3B14076 1803A576
	v_fma_f32 v118, v118, v192, v224                           // 000000004E74: D1CB0076 07838176
	v_fma_f32 v119, v119, v192, v225                           // 000000004E7C: D1CB0077 07878177
	v_perm_b32 v172, v119, v118, s45                           // 000000004E84: D1ED00AC 00B6ED77
	v_cvt_f32_i32_e32 v120, v120                               // 000000004E8C: 7EF00B78
	v_cvt_f32_i32_e32 v121, v121                               // 000000004E90: 7EF20B79
	v_pk_mul_f32 v[120:121], v[120:121], v[212:213]            // 000000004E94: D3B14078 1803A978
	v_fma_f32 v120, v120, v192, v226                           // 000000004E9C: D1CB0078 078B8178
	v_fma_f32 v121, v121, v192, v227                           // 000000004EA4: D1CB0079 078F8179
	v_perm_b32 v173, v121, v120, s45                           // 000000004EAC: D1ED00AD 00B6F179
	v_cvt_f32_i32_e32 v122, v122                               // 000000004EB4: 7EF40B7A
	v_cvt_f32_i32_e32 v123, v123                               // 000000004EB8: 7EF60B7B
	v_pk_mul_f32 v[122:123], v[122:123], v[206:207]            // 000000004EBC: D3B1407A 18039D7A
	v_fma_f32 v122, v122, v193, v220                           // 000000004EC4: D1CB007A 0773837A
	v_fma_f32 v123, v123, v193, v221                           // 000000004ECC: D1CB007B 0777837B
	v_perm_b32 v174, v123, v122, s45                           // 000000004ED4: D1ED00AE 00B6F57B
	v_cvt_f32_i32_e32 v124, v124                               // 000000004EDC: 7EF80B7C
	v_cvt_f32_i32_e32 v125, v125                               // 000000004EE0: 7EFA0B7D
	v_pk_mul_f32 v[124:125], v[124:125], v[208:209]            // 000000004EE4: D3B1407C 1803A17C
	v_fma_f32 v124, v124, v193, v222                           // 000000004EEC: D1CB007C 077B837C
	v_fma_f32 v125, v125, v193, v223                           // 000000004EF4: D1CB007D 077F837D
	v_perm_b32 v175, v125, v124, s45                           // 000000004EFC: D1ED00AF 00B6F97D
	v_cvt_f32_i32_e32 v126, v126                               // 000000004F04: 7EFC0B7E
	v_cvt_f32_i32_e32 v127, v127                               // 000000004F08: 7EFE0B7F
	v_pk_mul_f32 v[126:127], v[126:127], v[210:211]            // 000000004F0C: D3B1407E 1803A57E
	v_fma_f32 v126, v126, v193, v224                           // 000000004F14: D1CB007E 0783837E
	v_fma_f32 v127, v127, v193, v225                           // 000000004F1C: D1CB007F 0787837F
	v_perm_b32 v176, v127, v126, s45                           // 000000004F24: D1ED00B0 00B6FD7F
	v_cvt_f32_i32_e32 v128, v128                               // 000000004F2C: 7F000B80
	v_cvt_f32_i32_e32 v129, v129                               // 000000004F30: 7F020B81
	v_pk_mul_f32 v[128:129], v[128:129], v[212:213]            // 000000004F34: D3B14080 1803A980
	v_fma_f32 v128, v128, v193, v226                           // 000000004F3C: D1CB0080 078B8380
	v_fma_f32 v129, v129, v193, v227                           // 000000004F44: D1CB0081 078F8381
	v_perm_b32 v177, v129, v128, s45                           // 000000004F4C: D1ED00B1 00B70181
	v_cvt_f32_i32_e32 v130, v130                               // 000000004F54: 7F040B82
	v_cvt_f32_i32_e32 v131, v131                               // 000000004F58: 7F060B83
	v_pk_mul_f32 v[130:131], v[130:131], v[206:207]            // 000000004F5C: D3B14082 18039D82
	v_fma_f32 v130, v130, v194, v220                           // 000000004F64: D1CB0082 07738582
	v_fma_f32 v131, v131, v194, v221                           // 000000004F6C: D1CB0083 07778583
	v_perm_b32 v178, v131, v130, s45                           // 000000004F74: D1ED00B2 00B70583
	v_cvt_f32_i32_e32 v132, v132                               // 000000004F7C: 7F080B84
	v_cvt_f32_i32_e32 v133, v133                               // 000000004F80: 7F0A0B85
	v_pk_mul_f32 v[132:133], v[132:133], v[208:209]            // 000000004F84: D3B14084 1803A184
	v_fma_f32 v132, v132, v194, v222                           // 000000004F8C: D1CB0084 077B8584
	v_fma_f32 v133, v133, v194, v223                           // 000000004F94: D1CB0085 077F8585
	v_perm_b32 v179, v133, v132, s45                           // 000000004F9C: D1ED00B3 00B70985
	v_cvt_f32_i32_e32 v134, v134                               // 000000004FA4: 7F0C0B86
	v_cvt_f32_i32_e32 v135, v135                               // 000000004FA8: 7F0E0B87
	v_pk_mul_f32 v[134:135], v[134:135], v[210:211]            // 000000004FAC: D3B14086 1803A586
	v_fma_f32 v134, v134, v194, v224                           // 000000004FB4: D1CB0086 07838586
	v_fma_f32 v135, v135, v194, v225                           // 000000004FBC: D1CB0087 07878587
	v_perm_b32 v180, v135, v134, s45                           // 000000004FC4: D1ED00B4 00B70D87
	v_cvt_f32_i32_e32 v136, v136                               // 000000004FCC: 7F100B88
	v_cvt_f32_i32_e32 v137, v137                               // 000000004FD0: 7F120B89
	v_pk_mul_f32 v[136:137], v[136:137], v[212:213]            // 000000004FD4: D3B14088 1803A988
	v_fma_f32 v136, v136, v194, v226                           // 000000004FDC: D1CB0088 078B8588
	v_fma_f32 v137, v137, v194, v227                           // 000000004FE4: D1CB0089 078F8589
	v_perm_b32 v181, v137, v136, s45                           // 000000004FEC: D1ED00B5 00B71189
	v_cvt_f32_i32_e32 v138, v138                               // 000000004FF4: 7F140B8A
	v_cvt_f32_i32_e32 v139, v139                               // 000000004FF8: 7F160B8B
	v_pk_mul_f32 v[138:139], v[138:139], v[206:207]            // 000000004FFC: D3B1408A 18039D8A
	v_fma_f32 v138, v138, v195, v220                           // 000000005004: D1CB008A 0773878A
	v_fma_f32 v139, v139, v195, v221                           // 00000000500C: D1CB008B 0777878B
	v_perm_b32 v182, v139, v138, s45                           // 000000005014: D1ED00B6 00B7158B
	v_cvt_f32_i32_e32 v140, v140                               // 00000000501C: 7F180B8C
	v_cvt_f32_i32_e32 v141, v141                               // 000000005020: 7F1A0B8D
	v_pk_mul_f32 v[140:141], v[140:141], v[208:209]            // 000000005024: D3B1408C 1803A18C
	v_fma_f32 v140, v140, v195, v222                           // 00000000502C: D1CB008C 077B878C
	v_fma_f32 v141, v141, v195, v223                           // 000000005034: D1CB008D 077F878D
	v_perm_b32 v183, v141, v140, s45                           // 00000000503C: D1ED00B7 00B7198D
	v_cvt_f32_i32_e32 v142, v142                               // 000000005044: 7F1C0B8E
	v_cvt_f32_i32_e32 v143, v143                               // 000000005048: 7F1E0B8F
	v_pk_mul_f32 v[142:143], v[142:143], v[210:211]            // 00000000504C: D3B1408E 1803A58E
	v_fma_f32 v142, v142, v195, v224                           // 000000005054: D1CB008E 0783878E
	v_fma_f32 v143, v143, v195, v225                           // 00000000505C: D1CB008F 0787878F
	v_perm_b32 v184, v143, v142, s45                           // 000000005064: D1ED00B8 00B71D8F
	v_cvt_f32_i32_e32 v144, v144                               // 00000000506C: 7F200B90
	v_cvt_f32_i32_e32 v145, v145                               // 000000005070: 7F220B91
	v_pk_mul_f32 v[144:145], v[144:145], v[212:213]            // 000000005074: D3B14090 1803A990
	v_fma_f32 v144, v144, v195, v226                           // 00000000507C: D1CB0090 078B8790
	v_fma_f32 v145, v145, v195, v227                           // 000000005084: D1CB0091 078F8791
	v_perm_b32 v185, v145, v144, s45                           // 00000000508C: D1ED00B9 00B72191
	v_lshrrev_b32_e32 v4, 4, v0                                // 000000005094: 20080084
	v_mul_u32_u24_e32 v58, 34, v4                              // 000000005098: 107408A2
	v_and_b32_e32 v4, 15, v0                                   // 00000000509C: 2608008F
	v_mul_lo_u32 v5, 2, v4                                     // 0000000050A0: D2850005 00020882
	v_add_u32_e32 v58, v5, v58                                 // 0000000050A8: 68747505
	s_mul_i32 s47, s44, 0x110                                  // 0000000050AC: 922FFF2C 00000110
	v_add_u32_e32 v58, s47, v58                                // 0000000050B4: 6874742F
	v_lshlrev_b32_e32 v58, 2, v58                              // 0000000050B8: 24747482
	v_lshrrev_b32_e32 v4, 1, v0                                // 0000000050BC: 20080081
	v_mul_u32_u24_e32 v64, 34, v4                              // 0000000050C0: 108008A2
	v_and_b32_e32 v5, 1, v0                                    // 0000000050C4: 260A0081
	v_add_u32_e32 v64, v5, v64                                 // 0000000050C8: 68808105
	s_mul_i32 s47, s44, 2                                      // 0000000050CC: 922F822C
	v_add_u32_e32 v64, s47, v64                                // 0000000050D0: 6880802F
	v_lshlrev_b32_e32 v64, 2, v64                              // 0000000050D4: 24808082
	s_waitcnt vmcnt(0) expcnt(0) lgkmcnt(0)                    // 0000000050D8: BF8C0000
	s_barrier                                                  // 0000000050DC: BF8A0000
	ds_write_b64 v58, v[146:147]                               // 0000000050E0: D89A0000 0000923A
	ds_write_b64 v58, v[148:149] offset:544                    // 0000000050E8: D89A0220 0000943A
	ds_write_b64 v58, v[150:151] offset:4352                   // 0000000050F0: D89A1100 0000963A
	ds_write_b64 v58, v[152:153] offset:4896                   // 0000000050F8: D89A1320 0000983A
	ds_write_b64 v58, v[154:155] offset:8704                   // 000000005100: D89A2200 00009A3A
	ds_write_b64 v58, v[156:157] offset:9248                   // 000000005108: D89A2420 00009C3A
	ds_write_b64 v58, v[158:159] offset:13056                  // 000000005110: D89A3300 00009E3A
	ds_write_b64 v58, v[160:161] offset:13600                  // 000000005118: D89A3520 0000A03A
	ds_write_b64 v58, v[162:163] offset:17408                  // 000000005120: D89A4400 0000A23A
	ds_write_b64 v58, v[164:165] offset:17952                  // 000000005128: D89A4620 0000A43A
	ds_write_b64 v58, v[166:167] offset:21760                  // 000000005130: D89A5500 0000A63A
	ds_write_b64 v58, v[168:169] offset:22304                  // 000000005138: D89A5720 0000A83A
	ds_write_b64 v58, v[170:171] offset:26112                  // 000000005140: D89A6600 0000AA3A
	ds_write_b64 v58, v[172:173] offset:26656                  // 000000005148: D89A6820 0000AC3A
	ds_write_b64 v58, v[174:175] offset:30464                  // 000000005150: D89A7700 0000AE3A
	ds_write_b64 v58, v[176:177] offset:31008                  // 000000005158: D89A7920 0000B03A
	ds_write_b64 v58, v[178:179] offset:34816                  // 000000005160: D89A8800 0000B23A
	ds_write_b64 v58, v[180:181] offset:35360                  // 000000005168: D89A8A20 0000B43A
	ds_write_b64 v58, v[182:183] offset:39168                  // 000000005170: D89A9900 0000B63A
	ds_write_b64 v58, v[184:185] offset:39712                  // 000000005178: D89A9B20 0000B83A
	s_waitcnt lgkmcnt(0)                                       // 000000005180: BF8CC07F
	s_barrier                                                  // 000000005184: BF8A0000
	ds_read_b32 v146, v64                                      // 000000005188: D86C0000 92000040
	ds_read_b32 v147, v64 offset:32                            // 000000005190: D86C0020 93000040
	ds_read_b32 v148, v64 offset:64                            // 000000005198: D86C0040 94000040
	ds_read_b32 v149, v64 offset:96                            // 0000000051A0: D86C0060 95000040
	ds_read_b32 v150, v64 offset:4352                          // 0000000051A8: D86C1100 96000040
	ds_read_b32 v151, v64 offset:4384                          // 0000000051B0: D86C1120 97000040
	ds_read_b32 v152, v64 offset:4416                          // 0000000051B8: D86C1140 98000040
	ds_read_b32 v153, v64 offset:4448                          // 0000000051C0: D86C1160 99000040
	ds_read_b32 v154, v64 offset:8704                          // 0000000051C8: D86C2200 9A000040
	ds_read_b32 v155, v64 offset:8736                          // 0000000051D0: D86C2220 9B000040
	ds_read_b32 v156, v64 offset:8768                          // 0000000051D8: D86C2240 9C000040
	ds_read_b32 v157, v64 offset:8800                          // 0000000051E0: D86C2260 9D000040
	ds_read_b32 v158, v64 offset:13056                         // 0000000051E8: D86C3300 9E000040
	ds_read_b32 v159, v64 offset:13088                         // 0000000051F0: D86C3320 9F000040
	ds_read_b32 v160, v64 offset:13120                         // 0000000051F8: D86C3340 A0000040
	ds_read_b32 v161, v64 offset:13152                         // 000000005200: D86C3360 A1000040
	ds_read_b32 v162, v64 offset:17408                         // 000000005208: D86C4400 A2000040
	ds_read_b32 v163, v64 offset:17440                         // 000000005210: D86C4420 A3000040
	ds_read_b32 v164, v64 offset:17472                         // 000000005218: D86C4440 A4000040
	ds_read_b32 v165, v64 offset:17504                         // 000000005220: D86C4460 A5000040
	ds_read_b32 v166, v64 offset:21760                         // 000000005228: D86C5500 A6000040
	ds_read_b32 v167, v64 offset:21792                         // 000000005230: D86C5520 A7000040
	ds_read_b32 v168, v64 offset:21824                         // 000000005238: D86C5540 A8000040
	ds_read_b32 v169, v64 offset:21856                         // 000000005240: D86C5560 A9000040
	ds_read_b32 v170, v64 offset:26112                         // 000000005248: D86C6600 AA000040
	ds_read_b32 v171, v64 offset:26144                         // 000000005250: D86C6620 AB000040
	ds_read_b32 v172, v64 offset:26176                         // 000000005258: D86C6640 AC000040
	ds_read_b32 v173, v64 offset:26208                         // 000000005260: D86C6660 AD000040
	ds_read_b32 v174, v64 offset:30464                         // 000000005268: D86C7700 AE000040
	ds_read_b32 v175, v64 offset:30496                         // 000000005270: D86C7720 AF000040
	ds_read_b32 v176, v64 offset:30528                         // 000000005278: D86C7740 B0000040
	ds_read_b32 v177, v64 offset:30560                         // 000000005280: D86C7760 B1000040
	ds_read_b32 v178, v64 offset:34816                         // 000000005288: D86C8800 B2000040
	ds_read_b32 v179, v64 offset:34848                         // 000000005290: D86C8820 B3000040
	ds_read_b32 v180, v64 offset:34880                         // 000000005298: D86C8840 B4000040
	ds_read_b32 v181, v64 offset:34912                         // 0000000052A0: D86C8860 B5000040
	ds_read_b32 v182, v64 offset:39168                         // 0000000052A8: D86C9900 B6000040
	ds_read_b32 v183, v64 offset:39200                         // 0000000052B0: D86C9920 B7000040
	ds_read_b32 v184, v64 offset:39232                         // 0000000052B8: D86C9940 B8000040
	ds_read_b32 v185, v64 offset:39264                         // 0000000052C0: D86C9960 B9000040
	s_waitcnt lgkmcnt(0)                                       // 0000000052C8: BF8CC07F
	s_barrier                                                  // 0000000052CC: BF8A0000
	s_mul_i32 s47, s37, 4                                      // 0000000052D0: 922F8425
	s_mul_i32 s48, s37, 8                                      // 0000000052D4: 92308825
	s_mul_i32 s49, s37, 16                                     // 0000000052D8: 92319025
	v_mov_b32_e32 v4, v26                                      // 0000000052DC: 7E08031A
	v_mov_b32_e32 v5, 0                                        // 0000000052E0: 7E0A0280
	v_mov_b32_e32 v7, 0                                        // 0000000052E4: 7E0E0280
	v_mov_b32_e32 v9, 0                                        // 0000000052E8: 7E120280
	v_mov_b32_e32 v11, 0                                       // 0000000052EC: 7E160280
	v_mov_b32_e32 v6, v4                                       // 0000000052F0: 7E0C0304
	v_add_u32_e64 v10, v4, s48                                 // 0000000052F4: D134000A 00006104
	s_cmp_ge_u32 s77, s32                                      // 0000000052FC: BF09204D
	s_cbranch_scc1 label_0F97                                  // 000000005300: BF8502D6
	global_atomic_pk_add_bf16 v6, v146, s[80:81]               // 000000005304: DD488000 00509206
	v_add_u32_e64 v8, v6, s47                                  // 00000000530C: D1340008 00005F06
	s_add_i32 s77, s77, 4                                      // 000000005314: 814D844D
	s_cmp_ge_u32 s77, s32                                      // 000000005318: BF09204D
	s_cbranch_scc1 label_0F97                                  // 00000000531C: BF8502CF
	global_atomic_pk_add_bf16 v8, v147, s[80:81]               // 000000005320: DD488000 00509308
	s_add_i32 s77, s77, 4                                      // 000000005328: 814D844D
	s_cmp_ge_u32 s77, s32                                      // 00000000532C: BF09204D
	s_cbranch_scc1 label_0F97                                  // 000000005330: BF8502CA
	global_atomic_pk_add_bf16 v10, v148, s[80:81]              // 000000005334: DD488000 0050940A
	v_add_u32_e64 v12, v10, s47                                // 00000000533C: D134000C 00005F0A
	s_add_i32 s77, s77, 4                                      // 000000005344: 814D844D
	s_cmp_ge_u32 s77, s32                                      // 000000005348: BF09204D
	s_cbranch_scc1 label_0F97                                  // 00000000534C: BF8502C3
	global_atomic_pk_add_bf16 v12, v149, s[80:81]              // 000000005350: DD488000 0050950C
	s_add_i32 s77, s77, 4                                      // 000000005358: 814D844D
	v_add_u32_e64 v4, v4, s49                                  // 00000000535C: D1340004 00006304
	v_mov_b32_e32 v6, v4                                       // 000000005364: 7E0C0304
	v_add_u32_e64 v10, v4, s48                                 // 000000005368: D134000A 00006104
	s_cmp_ge_u32 s77, s32                                      // 000000005370: BF09204D
	s_cbranch_scc1 label_0F97                                  // 000000005374: BF8502B9
	global_atomic_pk_add_bf16 v6, v150, s[80:81]               // 000000005378: DD488000 00509606
	v_add_u32_e64 v8, v6, s47                                  // 000000005380: D1340008 00005F06
	s_add_i32 s77, s77, 4                                      // 000000005388: 814D844D
	s_cmp_ge_u32 s77, s32                                      // 00000000538C: BF09204D
	s_cbranch_scc1 label_0F97                                  // 000000005390: BF8502B2
	global_atomic_pk_add_bf16 v8, v151, s[80:81]               // 000000005394: DD488000 00509708
	s_add_i32 s77, s77, 4                                      // 00000000539C: 814D844D
	s_cmp_ge_u32 s77, s32                                      // 0000000053A0: BF09204D
	s_cbranch_scc1 label_0F97                                  // 0000000053A4: BF8502AD
	global_atomic_pk_add_bf16 v10, v152, s[80:81]              // 0000000053A8: DD488000 0050980A
	v_add_u32_e64 v12, v10, s47                                // 0000000053B0: D134000C 00005F0A
	s_add_i32 s77, s77, 4                                      // 0000000053B8: 814D844D
	s_cmp_ge_u32 s77, s32                                      // 0000000053BC: BF09204D
	s_cbranch_scc1 label_0F97                                  // 0000000053C0: BF8502A6
	global_atomic_pk_add_bf16 v12, v153, s[80:81]              // 0000000053C4: DD488000 0050990C
	s_add_i32 s77, s77, 4                                      // 0000000053CC: 814D844D
	v_add_u32_e64 v4, v4, s49                                  // 0000000053D0: D1340004 00006304
	v_mov_b32_e32 v6, v4                                       // 0000000053D8: 7E0C0304
	v_add_u32_e64 v10, v4, s48                                 // 0000000053DC: D134000A 00006104
	s_cmp_ge_u32 s77, s32                                      // 0000000053E4: BF09204D
	s_cbranch_scc1 label_0F97                                  // 0000000053E8: BF85029C
	global_atomic_pk_add_bf16 v6, v154, s[80:81]               // 0000000053EC: DD488000 00509A06
	v_add_u32_e64 v8, v6, s47                                  // 0000000053F4: D1340008 00005F06
	s_add_i32 s77, s77, 4                                      // 0000000053FC: 814D844D
	s_cmp_ge_u32 s77, s32                                      // 000000005400: BF09204D
	s_cbranch_scc1 label_0F97                                  // 000000005404: BF850295
	global_atomic_pk_add_bf16 v8, v155, s[80:81]               // 000000005408: DD488000 00509B08
	s_add_i32 s77, s77, 4                                      // 000000005410: 814D844D
	s_cmp_ge_u32 s77, s32                                      // 000000005414: BF09204D
	s_cbranch_scc1 label_0F97                                  // 000000005418: BF850290
	global_atomic_pk_add_bf16 v10, v156, s[80:81]              // 00000000541C: DD488000 00509C0A
	v_add_u32_e64 v12, v10, s47                                // 000000005424: D134000C 00005F0A
	s_add_i32 s77, s77, 4                                      // 00000000542C: 814D844D
	s_cmp_ge_u32 s77, s32                                      // 000000005430: BF09204D
	s_cbranch_scc1 label_0F97                                  // 000000005434: BF850289
	global_atomic_pk_add_bf16 v12, v157, s[80:81]              // 000000005438: DD488000 00509D0C
	s_add_i32 s77, s77, 4                                      // 000000005440: 814D844D
	v_add_u32_e64 v4, v4, s49                                  // 000000005444: D1340004 00006304
	v_mov_b32_e32 v6, v4                                       // 00000000544C: 7E0C0304
	v_add_u32_e64 v10, v4, s48                                 // 000000005450: D134000A 00006104
	s_cmp_ge_u32 s77, s32                                      // 000000005458: BF09204D
	s_cbranch_scc1 label_0F97                                  // 00000000545C: BF85027F
	global_atomic_pk_add_bf16 v6, v158, s[80:81]               // 000000005460: DD488000 00509E06
	v_add_u32_e64 v8, v6, s47                                  // 000000005468: D1340008 00005F06
	s_add_i32 s77, s77, 4                                      // 000000005470: 814D844D
	s_cmp_ge_u32 s77, s32                                      // 000000005474: BF09204D
	s_cbranch_scc1 label_0F97                                  // 000000005478: BF850278
	global_atomic_pk_add_bf16 v8, v159, s[80:81]               // 00000000547C: DD488000 00509F08
	s_add_i32 s77, s77, 4                                      // 000000005484: 814D844D
	s_cmp_ge_u32 s77, s32                                      // 000000005488: BF09204D
	s_cbranch_scc1 label_0F97                                  // 00000000548C: BF850273
	global_atomic_pk_add_bf16 v10, v160, s[80:81]              // 000000005490: DD488000 0050A00A
	v_add_u32_e64 v12, v10, s47                                // 000000005498: D134000C 00005F0A
	s_add_i32 s77, s77, 4                                      // 0000000054A0: 814D844D
	s_cmp_ge_u32 s77, s32                                      // 0000000054A4: BF09204D
	s_cbranch_scc1 label_0F97                                  // 0000000054A8: BF85026C
	global_atomic_pk_add_bf16 v12, v161, s[80:81]              // 0000000054AC: DD488000 0050A10C
	s_add_i32 s77, s77, 4                                      // 0000000054B4: 814D844D
	v_add_u32_e64 v4, v4, s49                                  // 0000000054B8: D1340004 00006304
	v_mov_b32_e32 v6, v4                                       // 0000000054C0: 7E0C0304
	v_add_u32_e64 v10, v4, s48                                 // 0000000054C4: D134000A 00006104
	s_cmp_ge_u32 s77, s32                                      // 0000000054CC: BF09204D
	s_cbranch_scc1 label_0F97                                  // 0000000054D0: BF850262
	global_atomic_pk_add_bf16 v6, v162, s[80:81]               // 0000000054D4: DD488000 0050A206
	v_add_u32_e64 v8, v6, s47                                  // 0000000054DC: D1340008 00005F06
	s_add_i32 s77, s77, 4                                      // 0000000054E4: 814D844D
	s_cmp_ge_u32 s77, s32                                      // 0000000054E8: BF09204D
	s_cbranch_scc1 label_0F97                                  // 0000000054EC: BF85025B
	global_atomic_pk_add_bf16 v8, v163, s[80:81]               // 0000000054F0: DD488000 0050A308
	s_add_i32 s77, s77, 4                                      // 0000000054F8: 814D844D
	s_cmp_ge_u32 s77, s32                                      // 0000000054FC: BF09204D
	s_cbranch_scc1 label_0F97                                  // 000000005500: BF850256
	global_atomic_pk_add_bf16 v10, v164, s[80:81]              // 000000005504: DD488000 0050A40A
	v_add_u32_e64 v12, v10, s47                                // 00000000550C: D134000C 00005F0A
	s_add_i32 s77, s77, 4                                      // 000000005514: 814D844D
	s_cmp_ge_u32 s77, s32                                      // 000000005518: BF09204D
	s_cbranch_scc1 label_0F97                                  // 00000000551C: BF85024F
	global_atomic_pk_add_bf16 v12, v165, s[80:81]              // 000000005520: DD488000 0050A50C
	s_add_i32 s77, s77, 4                                      // 000000005528: 814D844D
	v_add_u32_e64 v4, v4, s49                                  // 00000000552C: D1340004 00006304
	v_mov_b32_e32 v6, v4                                       // 000000005534: 7E0C0304
	v_add_u32_e64 v10, v4, s48                                 // 000000005538: D134000A 00006104
	s_cmp_ge_u32 s77, s32                                      // 000000005540: BF09204D
	s_cbranch_scc1 label_0F97                                  // 000000005544: BF850245
	global_atomic_pk_add_bf16 v6, v166, s[80:81]               // 000000005548: DD488000 0050A606
	v_add_u32_e64 v8, v6, s47                                  // 000000005550: D1340008 00005F06
	s_add_i32 s77, s77, 4                                      // 000000005558: 814D844D
	s_cmp_ge_u32 s77, s32                                      // 00000000555C: BF09204D
	s_cbranch_scc1 label_0F97                                  // 000000005560: BF85023E
	global_atomic_pk_add_bf16 v8, v167, s[80:81]               // 000000005564: DD488000 0050A708
	s_add_i32 s77, s77, 4                                      // 00000000556C: 814D844D
	s_cmp_ge_u32 s77, s32                                      // 000000005570: BF09204D
	s_cbranch_scc1 label_0F97                                  // 000000005574: BF850239
	global_atomic_pk_add_bf16 v10, v168, s[80:81]              // 000000005578: DD488000 0050A80A
	v_add_u32_e64 v12, v10, s47                                // 000000005580: D134000C 00005F0A
	s_add_i32 s77, s77, 4                                      // 000000005588: 814D844D
	s_cmp_ge_u32 s77, s32                                      // 00000000558C: BF09204D
	s_cbranch_scc1 label_0F97                                  // 000000005590: BF850232
	global_atomic_pk_add_bf16 v12, v169, s[80:81]              // 000000005594: DD488000 0050A90C
	s_add_i32 s77, s77, 4                                      // 00000000559C: 814D844D
	v_add_u32_e64 v4, v4, s49                                  // 0000000055A0: D1340004 00006304
	v_mov_b32_e32 v6, v4                                       // 0000000055A8: 7E0C0304
	v_add_u32_e64 v10, v4, s48                                 // 0000000055AC: D134000A 00006104
	s_cmp_ge_u32 s77, s32                                      // 0000000055B4: BF09204D
	s_cbranch_scc1 label_0F97                                  // 0000000055B8: BF850228
	global_atomic_pk_add_bf16 v6, v170, s[80:81]               // 0000000055BC: DD488000 0050AA06
	v_add_u32_e64 v8, v6, s47                                  // 0000000055C4: D1340008 00005F06
	s_add_i32 s77, s77, 4                                      // 0000000055CC: 814D844D
	s_cmp_ge_u32 s77, s32                                      // 0000000055D0: BF09204D
	s_cbranch_scc1 label_0F97                                  // 0000000055D4: BF850221
	global_atomic_pk_add_bf16 v8, v171, s[80:81]               // 0000000055D8: DD488000 0050AB08
	s_add_i32 s77, s77, 4                                      // 0000000055E0: 814D844D
	s_cmp_ge_u32 s77, s32                                      // 0000000055E4: BF09204D
	s_cbranch_scc1 label_0F97                                  // 0000000055E8: BF85021C
	global_atomic_pk_add_bf16 v10, v172, s[80:81]              // 0000000055EC: DD488000 0050AC0A
	v_add_u32_e64 v12, v10, s47                                // 0000000055F4: D134000C 00005F0A
	s_add_i32 s77, s77, 4                                      // 0000000055FC: 814D844D
	s_cmp_ge_u32 s77, s32                                      // 000000005600: BF09204D
	s_cbranch_scc1 label_0F97                                  // 000000005604: BF850215
	global_atomic_pk_add_bf16 v12, v173, s[80:81]              // 000000005608: DD488000 0050AD0C
	s_add_i32 s77, s77, 4                                      // 000000005610: 814D844D
	v_add_u32_e64 v4, v4, s49                                  // 000000005614: D1340004 00006304
	v_mov_b32_e32 v6, v4                                       // 00000000561C: 7E0C0304
	v_add_u32_e64 v10, v4, s48                                 // 000000005620: D134000A 00006104
	s_cmp_ge_u32 s77, s32                                      // 000000005628: BF09204D
	s_cbranch_scc1 label_0F97                                  // 00000000562C: BF85020B
	global_atomic_pk_add_bf16 v6, v174, s[80:81]               // 000000005630: DD488000 0050AE06
	v_add_u32_e64 v8, v6, s47                                  // 000000005638: D1340008 00005F06
	s_add_i32 s77, s77, 4                                      // 000000005640: 814D844D
	s_cmp_ge_u32 s77, s32                                      // 000000005644: BF09204D
	s_cbranch_scc1 label_0F97                                  // 000000005648: BF850204
	global_atomic_pk_add_bf16 v8, v175, s[80:81]               // 00000000564C: DD488000 0050AF08
	s_add_i32 s77, s77, 4                                      // 000000005654: 814D844D
	s_cmp_ge_u32 s77, s32                                      // 000000005658: BF09204D
	s_cbranch_scc1 label_0F97                                  // 00000000565C: BF8501FF
	global_atomic_pk_add_bf16 v10, v176, s[80:81]              // 000000005660: DD488000 0050B00A
	v_add_u32_e64 v12, v10, s47                                // 000000005668: D134000C 00005F0A
	s_add_i32 s77, s77, 4                                      // 000000005670: 814D844D
	s_cmp_ge_u32 s77, s32                                      // 000000005674: BF09204D
	s_cbranch_scc1 label_0F97                                  // 000000005678: BF8501F8
	global_atomic_pk_add_bf16 v12, v177, s[80:81]              // 00000000567C: DD488000 0050B10C
	s_add_i32 s77, s77, 4                                      // 000000005684: 814D844D
	v_add_u32_e64 v4, v4, s49                                  // 000000005688: D1340004 00006304
	v_mov_b32_e32 v6, v4                                       // 000000005690: 7E0C0304
	v_add_u32_e64 v10, v4, s48                                 // 000000005694: D134000A 00006104
	s_cmp_ge_u32 s77, s32                                      // 00000000569C: BF09204D
	s_cbranch_scc1 label_0F97                                  // 0000000056A0: BF8501EE
	global_atomic_pk_add_bf16 v6, v178, s[80:81]               // 0000000056A4: DD488000 0050B206
	v_add_u32_e64 v8, v6, s47                                  // 0000000056AC: D1340008 00005F06
	s_add_i32 s77, s77, 4                                      // 0000000056B4: 814D844D
	s_cmp_ge_u32 s77, s32                                      // 0000000056B8: BF09204D
	s_cbranch_scc1 label_0F97                                  // 0000000056BC: BF8501E7
	global_atomic_pk_add_bf16 v8, v179, s[80:81]               // 0000000056C0: DD488000 0050B308
	s_add_i32 s77, s77, 4                                      // 0000000056C8: 814D844D
	s_cmp_ge_u32 s77, s32                                      // 0000000056CC: BF09204D
	s_cbranch_scc1 label_0F97                                  // 0000000056D0: BF8501E2
	global_atomic_pk_add_bf16 v10, v180, s[80:81]              // 0000000056D4: DD488000 0050B40A
	v_add_u32_e64 v12, v10, s47                                // 0000000056DC: D134000C 00005F0A
	s_add_i32 s77, s77, 4                                      // 0000000056E4: 814D844D
	s_cmp_ge_u32 s77, s32                                      // 0000000056E8: BF09204D
	s_cbranch_scc1 label_0F97                                  // 0000000056EC: BF8501DB
	global_atomic_pk_add_bf16 v12, v181, s[80:81]              // 0000000056F0: DD488000 0050B50C
	s_add_i32 s77, s77, 4                                      // 0000000056F8: 814D844D
	v_add_u32_e64 v4, v4, s49                                  // 0000000056FC: D1340004 00006304
	v_mov_b32_e32 v6, v4                                       // 000000005704: 7E0C0304
	v_add_u32_e64 v10, v4, s48                                 // 000000005708: D134000A 00006104
	s_cmp_ge_u32 s77, s32                                      // 000000005710: BF09204D
	s_cbranch_scc1 label_0F97                                  // 000000005714: BF8501D1
	global_atomic_pk_add_bf16 v6, v182, s[80:81]               // 000000005718: DD488000 0050B606
	v_add_u32_e64 v8, v6, s47                                  // 000000005720: D1340008 00005F06
	s_add_i32 s77, s77, 4                                      // 000000005728: 814D844D
	s_cmp_ge_u32 s77, s32                                      // 00000000572C: BF09204D
	s_cbranch_scc1 label_0F97                                  // 000000005730: BF8501CA
	global_atomic_pk_add_bf16 v8, v183, s[80:81]               // 000000005734: DD488000 0050B708
	s_add_i32 s77, s77, 4                                      // 00000000573C: 814D844D
	s_cmp_ge_u32 s77, s32                                      // 000000005740: BF09204D
	s_cbranch_scc1 label_0F97                                  // 000000005744: BF8501C5
	global_atomic_pk_add_bf16 v10, v184, s[80:81]              // 000000005748: DD488000 0050B80A
	v_add_u32_e64 v12, v10, s47                                // 000000005750: D134000C 00005F0A
	s_add_i32 s77, s77, 4                                      // 000000005758: 814D844D
	s_cmp_ge_u32 s77, s32                                      // 00000000575C: BF09204D
	s_cbranch_scc1 label_0F97                                  // 000000005760: BF8501BE
	global_atomic_pk_add_bf16 v12, v185, s[80:81]              // 000000005764: DD488000 0050B90C
	s_add_i32 s77, s77, 4                                      // 00000000576C: 814D844D
	v_add_u32_e64 v4, v4, s49                                  // 000000005770: D1340004 00006304
	s_branch label_0F97                                        // 000000005778: BF8201B8

000000000000577c <label_0DDF>:
	v_cvt_f32_i32_e32 v66, v66                                 // 00000000577C: 7E840B42
	v_cvt_f32_i32_e32 v67, v67                                 // 000000005780: 7E860B43
	v_pk_mul_f32 v[66:67], v[66:67], v[206:207]                // 000000005784: D3B14042 18039D42
	v_fma_f32 v66, v66, v186, v220                             // 00000000578C: D1CB0042 07737542
	v_fma_f32 v67, v67, v186, v221                             // 000000005794: D1CB0043 07777543
	v_perm_b32 v146, v67, v66, s45                             // 00000000579C: D1ED0092 00B68543
	v_cvt_f32_i32_e32 v68, v68                                 // 0000000057A4: 7E880B44
	v_cvt_f32_i32_e32 v69, v69                                 // 0000000057A8: 7E8A0B45
	v_pk_mul_f32 v[68:69], v[68:69], v[208:209]                // 0000000057AC: D3B14044 1803A144
	v_fma_f32 v68, v68, v186, v222                             // 0000000057B4: D1CB0044 077B7544
	v_fma_f32 v69, v69, v186, v223                             // 0000000057BC: D1CB0045 077F7545
	v_perm_b32 v147, v69, v68, s45                             // 0000000057C4: D1ED0093 00B68945
	buffer_store_dwordx2 v[146:147], v16, s[16:19], 0 offen    // 0000000057CC: E0741000 80049210
	v_cvt_f32_i32_e32 v70, v70                                 // 0000000057D4: 7E8C0B46
	v_cvt_f32_i32_e32 v71, v71                                 // 0000000057D8: 7E8E0B47
	v_pk_mul_f32 v[70:71], v[70:71], v[210:211]                // 0000000057DC: D3B14046 1803A546
	v_fma_f32 v70, v70, v186, v224                             // 0000000057E4: D1CB0046 07837546
	v_fma_f32 v71, v71, v186, v225                             // 0000000057EC: D1CB0047 07877547
	v_perm_b32 v148, v71, v70, s45                             // 0000000057F4: D1ED0094 00B68D47
	v_cvt_f32_i32_e32 v72, v72                                 // 0000000057FC: 7E900B48
	v_cvt_f32_i32_e32 v73, v73                                 // 000000005800: 7E920B49
	v_pk_mul_f32 v[72:73], v[72:73], v[212:213]                // 000000005804: D3B14048 1803A948
	v_fma_f32 v72, v72, v186, v226                             // 00000000580C: D1CB0048 078B7548
	v_fma_f32 v73, v73, v186, v227                             // 000000005814: D1CB0049 078F7549
	v_perm_b32 v149, v73, v72, s45                             // 00000000581C: D1ED0095 00B69149
	buffer_store_dwordx2 v[148:149], v16, s[16:19], 0 offen offset:32// 000000005824: E0741020 80049410
	v_cvt_f32_i32_e32 v74, v74                                 // 00000000582C: 7E940B4A
	v_cvt_f32_i32_e32 v75, v75                                 // 000000005830: 7E960B4B
	v_pk_mul_f32 v[74:75], v[74:75], v[206:207]                // 000000005834: D3B1404A 18039D4A
	v_fma_f32 v74, v74, v187, v220                             // 00000000583C: D1CB004A 0773774A
	v_fma_f32 v75, v75, v187, v221                             // 000000005844: D1CB004B 0777774B
	v_perm_b32 v150, v75, v74, s45                             // 00000000584C: D1ED0096 00B6954B
	v_cvt_f32_i32_e32 v76, v76                                 // 000000005854: 7E980B4C
	v_cvt_f32_i32_e32 v77, v77                                 // 000000005858: 7E9A0B4D
	v_pk_mul_f32 v[76:77], v[76:77], v[208:209]                // 00000000585C: D3B1404C 1803A14C
	v_fma_f32 v76, v76, v187, v222                             // 000000005864: D1CB004C 077B774C
	v_fma_f32 v77, v77, v187, v223                             // 00000000586C: D1CB004D 077F774D
	v_perm_b32 v151, v77, v76, s45                             // 000000005874: D1ED0097 00B6994D
	buffer_store_dwordx2 v[150:151], v17, s[16:19], 0 offen    // 00000000587C: E0741000 80049611
	v_cvt_f32_i32_e32 v78, v78                                 // 000000005884: 7E9C0B4E
	v_cvt_f32_i32_e32 v79, v79                                 // 000000005888: 7E9E0B4F
	v_pk_mul_f32 v[78:79], v[78:79], v[210:211]                // 00000000588C: D3B1404E 1803A54E
	v_fma_f32 v78, v78, v187, v224                             // 000000005894: D1CB004E 0783774E
	v_fma_f32 v79, v79, v187, v225                             // 00000000589C: D1CB004F 0787774F
	v_perm_b32 v152, v79, v78, s45                             // 0000000058A4: D1ED0098 00B69D4F
	v_cvt_f32_i32_e32 v80, v80                                 // 0000000058AC: 7EA00B50
	v_cvt_f32_i32_e32 v81, v81                                 // 0000000058B0: 7EA20B51
	v_pk_mul_f32 v[80:81], v[80:81], v[212:213]                // 0000000058B4: D3B14050 1803A950
	v_fma_f32 v80, v80, v187, v226                             // 0000000058BC: D1CB0050 078B7750
	v_fma_f32 v81, v81, v187, v227                             // 0000000058C4: D1CB0051 078F7751
	v_perm_b32 v153, v81, v80, s45                             // 0000000058CC: D1ED0099 00B6A151
	buffer_store_dwordx2 v[152:153], v17, s[16:19], 0 offen offset:32// 0000000058D4: E0741020 80049811
	v_cvt_f32_i32_e32 v82, v82                                 // 0000000058DC: 7EA40B52
	v_cvt_f32_i32_e32 v83, v83                                 // 0000000058E0: 7EA60B53
	v_pk_mul_f32 v[82:83], v[82:83], v[206:207]                // 0000000058E4: D3B14052 18039D52
	v_fma_f32 v82, v82, v188, v220                             // 0000000058EC: D1CB0052 07737952
	v_fma_f32 v83, v83, v188, v221                             // 0000000058F4: D1CB0053 07777953
	v_perm_b32 v154, v83, v82, s45                             // 0000000058FC: D1ED009A 00B6A553
	v_cvt_f32_i32_e32 v84, v84                                 // 000000005904: 7EA80B54
	v_cvt_f32_i32_e32 v85, v85                                 // 000000005908: 7EAA0B55
	v_pk_mul_f32 v[84:85], v[84:85], v[208:209]                // 00000000590C: D3B14054 1803A154
	v_fma_f32 v84, v84, v188, v222                             // 000000005914: D1CB0054 077B7954
	v_fma_f32 v85, v85, v188, v223                             // 00000000591C: D1CB0055 077F7955
	v_perm_b32 v155, v85, v84, s45                             // 000000005924: D1ED009B 00B6A955
	buffer_store_dwordx2 v[154:155], v18, s[16:19], 0 offen    // 00000000592C: E0741000 80049A12
	v_cvt_f32_i32_e32 v86, v86                                 // 000000005934: 7EAC0B56
	v_cvt_f32_i32_e32 v87, v87                                 // 000000005938: 7EAE0B57
	v_pk_mul_f32 v[86:87], v[86:87], v[210:211]                // 00000000593C: D3B14056 1803A556
	v_fma_f32 v86, v86, v188, v224                             // 000000005944: D1CB0056 07837956
	v_fma_f32 v87, v87, v188, v225                             // 00000000594C: D1CB0057 07877957
	v_perm_b32 v156, v87, v86, s45                             // 000000005954: D1ED009C 00B6AD57
	v_cvt_f32_i32_e32 v88, v88                                 // 00000000595C: 7EB00B58
	v_cvt_f32_i32_e32 v89, v89                                 // 000000005960: 7EB20B59
	v_pk_mul_f32 v[88:89], v[88:89], v[212:213]                // 000000005964: D3B14058 1803A958
	v_fma_f32 v88, v88, v188, v226                             // 00000000596C: D1CB0058 078B7958
	v_fma_f32 v89, v89, v188, v227                             // 000000005974: D1CB0059 078F7959
	v_perm_b32 v157, v89, v88, s45                             // 00000000597C: D1ED009D 00B6B159
	buffer_store_dwordx2 v[156:157], v18, s[16:19], 0 offen offset:32// 000000005984: E0741020 80049C12
	v_cvt_f32_i32_e32 v90, v90                                 // 00000000598C: 7EB40B5A
	v_cvt_f32_i32_e32 v91, v91                                 // 000000005990: 7EB60B5B
	v_pk_mul_f32 v[90:91], v[90:91], v[206:207]                // 000000005994: D3B1405A 18039D5A
	v_fma_f32 v90, v90, v189, v220                             // 00000000599C: D1CB005A 07737B5A
	v_fma_f32 v91, v91, v189, v221                             // 0000000059A4: D1CB005B 07777B5B
	v_perm_b32 v158, v91, v90, s45                             // 0000000059AC: D1ED009E 00B6B55B
	v_cvt_f32_i32_e32 v92, v92                                 // 0000000059B4: 7EB80B5C
	v_cvt_f32_i32_e32 v93, v93                                 // 0000000059B8: 7EBA0B5D
	v_pk_mul_f32 v[92:93], v[92:93], v[208:209]                // 0000000059BC: D3B1405C 1803A15C
	v_fma_f32 v92, v92, v189, v222                             // 0000000059C4: D1CB005C 077B7B5C
	v_fma_f32 v93, v93, v189, v223                             // 0000000059CC: D1CB005D 077F7B5D
	v_perm_b32 v159, v93, v92, s45                             // 0000000059D4: D1ED009F 00B6B95D
	buffer_store_dwordx2 v[158:159], v19, s[16:19], 0 offen    // 0000000059DC: E0741000 80049E13
	v_cvt_f32_i32_e32 v94, v94                                 // 0000000059E4: 7EBC0B5E
	v_cvt_f32_i32_e32 v95, v95                                 // 0000000059E8: 7EBE0B5F
	v_pk_mul_f32 v[94:95], v[94:95], v[210:211]                // 0000000059EC: D3B1405E 1803A55E
	v_fma_f32 v94, v94, v189, v224                             // 0000000059F4: D1CB005E 07837B5E
	v_fma_f32 v95, v95, v189, v225                             // 0000000059FC: D1CB005F 07877B5F
	v_perm_b32 v160, v95, v94, s45                             // 000000005A04: D1ED00A0 00B6BD5F
	v_cvt_f32_i32_e32 v96, v96                                 // 000000005A0C: 7EC00B60
	v_cvt_f32_i32_e32 v97, v97                                 // 000000005A10: 7EC20B61
	v_pk_mul_f32 v[96:97], v[96:97], v[212:213]                // 000000005A14: D3B14060 1803A960
	v_fma_f32 v96, v96, v189, v226                             // 000000005A1C: D1CB0060 078B7B60
	v_fma_f32 v97, v97, v189, v227                             // 000000005A24: D1CB0061 078F7B61
	v_perm_b32 v161, v97, v96, s45                             // 000000005A2C: D1ED00A1 00B6C161
	buffer_store_dwordx2 v[160:161], v19, s[16:19], 0 offen offset:32// 000000005A34: E0741020 8004A013
	v_cvt_f32_i32_e32 v98, v98                                 // 000000005A3C: 7EC40B62
	v_cvt_f32_i32_e32 v99, v99                                 // 000000005A40: 7EC60B63
	v_pk_mul_f32 v[98:99], v[98:99], v[206:207]                // 000000005A44: D3B14062 18039D62
	v_fma_f32 v98, v98, v190, v220                             // 000000005A4C: D1CB0062 07737D62
	v_fma_f32 v99, v99, v190, v221                             // 000000005A54: D1CB0063 07777D63
	v_perm_b32 v162, v99, v98, s45                             // 000000005A5C: D1ED00A2 00B6C563
	v_cvt_f32_i32_e32 v100, v100                               // 000000005A64: 7EC80B64
	v_cvt_f32_i32_e32 v101, v101                               // 000000005A68: 7ECA0B65
	v_pk_mul_f32 v[100:101], v[100:101], v[208:209]            // 000000005A6C: D3B14064 1803A164
	v_fma_f32 v100, v100, v190, v222                           // 000000005A74: D1CB0064 077B7D64
	v_fma_f32 v101, v101, v190, v223                           // 000000005A7C: D1CB0065 077F7D65
	v_perm_b32 v163, v101, v100, s45                           // 000000005A84: D1ED00A3 00B6C965
	buffer_store_dwordx2 v[162:163], v20, s[16:19], 0 offen    // 000000005A8C: E0741000 8004A214
	v_cvt_f32_i32_e32 v102, v102                               // 000000005A94: 7ECC0B66
	v_cvt_f32_i32_e32 v103, v103                               // 000000005A98: 7ECE0B67
	v_pk_mul_f32 v[102:103], v[102:103], v[210:211]            // 000000005A9C: D3B14066 1803A566
	v_fma_f32 v102, v102, v190, v224                           // 000000005AA4: D1CB0066 07837D66
	v_fma_f32 v103, v103, v190, v225                           // 000000005AAC: D1CB0067 07877D67
	v_perm_b32 v164, v103, v102, s45                           // 000000005AB4: D1ED00A4 00B6CD67
	v_cvt_f32_i32_e32 v104, v104                               // 000000005ABC: 7ED00B68
	v_cvt_f32_i32_e32 v105, v105                               // 000000005AC0: 7ED20B69
	v_pk_mul_f32 v[104:105], v[104:105], v[212:213]            // 000000005AC4: D3B14068 1803A968
	v_fma_f32 v104, v104, v190, v226                           // 000000005ACC: D1CB0068 078B7D68
	v_fma_f32 v105, v105, v190, v227                           // 000000005AD4: D1CB0069 078F7D69
	v_perm_b32 v165, v105, v104, s45                           // 000000005ADC: D1ED00A5 00B6D169
	buffer_store_dwordx2 v[164:165], v20, s[16:19], 0 offen offset:32// 000000005AE4: E0741020 8004A414
	v_cvt_f32_i32_e32 v106, v106                               // 000000005AEC: 7ED40B6A
	v_cvt_f32_i32_e32 v107, v107                               // 000000005AF0: 7ED60B6B
	v_pk_mul_f32 v[106:107], v[106:107], v[206:207]            // 000000005AF4: D3B1406A 18039D6A
	v_fma_f32 v106, v106, v191, v220                           // 000000005AFC: D1CB006A 07737F6A
	v_fma_f32 v107, v107, v191, v221                           // 000000005B04: D1CB006B 07777F6B
	v_perm_b32 v166, v107, v106, s45                           // 000000005B0C: D1ED00A6 00B6D56B
	v_cvt_f32_i32_e32 v108, v108                               // 000000005B14: 7ED80B6C
	v_cvt_f32_i32_e32 v109, v109                               // 000000005B18: 7EDA0B6D
	v_pk_mul_f32 v[108:109], v[108:109], v[208:209]            // 000000005B1C: D3B1406C 1803A16C
	v_fma_f32 v108, v108, v191, v222                           // 000000005B24: D1CB006C 077B7F6C
	v_fma_f32 v109, v109, v191, v223                           // 000000005B2C: D1CB006D 077F7F6D
	v_perm_b32 v167, v109, v108, s45                           // 000000005B34: D1ED00A7 00B6D96D
	buffer_store_dwordx2 v[166:167], v21, s[16:19], 0 offen    // 000000005B3C: E0741000 8004A615
	v_cvt_f32_i32_e32 v110, v110                               // 000000005B44: 7EDC0B6E
	v_cvt_f32_i32_e32 v111, v111                               // 000000005B48: 7EDE0B6F
	v_pk_mul_f32 v[110:111], v[110:111], v[210:211]            // 000000005B4C: D3B1406E 1803A56E
	v_fma_f32 v110, v110, v191, v224                           // 000000005B54: D1CB006E 07837F6E
	v_fma_f32 v111, v111, v191, v225                           // 000000005B5C: D1CB006F 07877F6F
	v_perm_b32 v168, v111, v110, s45                           // 000000005B64: D1ED00A8 00B6DD6F
	v_cvt_f32_i32_e32 v112, v112                               // 000000005B6C: 7EE00B70
	v_cvt_f32_i32_e32 v113, v113                               // 000000005B70: 7EE20B71
	v_pk_mul_f32 v[112:113], v[112:113], v[212:213]            // 000000005B74: D3B14070 1803A970
	v_fma_f32 v112, v112, v191, v226                           // 000000005B7C: D1CB0070 078B7F70
	v_fma_f32 v113, v113, v191, v227                           // 000000005B84: D1CB0071 078F7F71
	v_perm_b32 v169, v113, v112, s45                           // 000000005B8C: D1ED00A9 00B6E171
	buffer_store_dwordx2 v[168:169], v21, s[16:19], 0 offen offset:32// 000000005B94: E0741020 8004A815
	v_cvt_f32_i32_e32 v114, v114                               // 000000005B9C: 7EE40B72
	v_cvt_f32_i32_e32 v115, v115                               // 000000005BA0: 7EE60B73
	v_pk_mul_f32 v[114:115], v[114:115], v[206:207]            // 000000005BA4: D3B14072 18039D72
	v_fma_f32 v114, v114, v192, v220                           // 000000005BAC: D1CB0072 07738172
	v_fma_f32 v115, v115, v192, v221                           // 000000005BB4: D1CB0073 07778173
	v_perm_b32 v170, v115, v114, s45                           // 000000005BBC: D1ED00AA 00B6E573
	v_cvt_f32_i32_e32 v116, v116                               // 000000005BC4: 7EE80B74
	v_cvt_f32_i32_e32 v117, v117                               // 000000005BC8: 7EEA0B75
	v_pk_mul_f32 v[116:117], v[116:117], v[208:209]            // 000000005BCC: D3B14074 1803A174
	v_fma_f32 v116, v116, v192, v222                           // 000000005BD4: D1CB0074 077B8174
	v_fma_f32 v117, v117, v192, v223                           // 000000005BDC: D1CB0075 077F8175
	v_perm_b32 v171, v117, v116, s45                           // 000000005BE4: D1ED00AB 00B6E975
	buffer_store_dwordx2 v[170:171], v22, s[16:19], 0 offen    // 000000005BEC: E0741000 8004AA16
	v_cvt_f32_i32_e32 v118, v118                               // 000000005BF4: 7EEC0B76
	v_cvt_f32_i32_e32 v119, v119                               // 000000005BF8: 7EEE0B77
	v_pk_mul_f32 v[118:119], v[118:119], v[210:211]            // 000000005BFC: D3B14076 1803A576
	v_fma_f32 v118, v118, v192, v224                           // 000000005C04: D1CB0076 07838176
	v_fma_f32 v119, v119, v192, v225                           // 000000005C0C: D1CB0077 07878177
	v_perm_b32 v172, v119, v118, s45                           // 000000005C14: D1ED00AC 00B6ED77
	v_cvt_f32_i32_e32 v120, v120                               // 000000005C1C: 7EF00B78
	v_cvt_f32_i32_e32 v121, v121                               // 000000005C20: 7EF20B79
	v_pk_mul_f32 v[120:121], v[120:121], v[212:213]            // 000000005C24: D3B14078 1803A978
	v_fma_f32 v120, v120, v192, v226                           // 000000005C2C: D1CB0078 078B8178
	v_fma_f32 v121, v121, v192, v227                           // 000000005C34: D1CB0079 078F8179
	v_perm_b32 v173, v121, v120, s45                           // 000000005C3C: D1ED00AD 00B6F179
	buffer_store_dwordx2 v[172:173], v22, s[16:19], 0 offen offset:32// 000000005C44: E0741020 8004AC16
	v_cvt_f32_i32_e32 v122, v122                               // 000000005C4C: 7EF40B7A
	v_cvt_f32_i32_e32 v123, v123                               // 000000005C50: 7EF60B7B
	v_pk_mul_f32 v[122:123], v[122:123], v[206:207]            // 000000005C54: D3B1407A 18039D7A
	v_fma_f32 v122, v122, v193, v220                           // 000000005C5C: D1CB007A 0773837A
	v_fma_f32 v123, v123, v193, v221                           // 000000005C64: D1CB007B 0777837B
	v_perm_b32 v174, v123, v122, s45                           // 000000005C6C: D1ED00AE 00B6F57B
	v_cvt_f32_i32_e32 v124, v124                               // 000000005C74: 7EF80B7C
	v_cvt_f32_i32_e32 v125, v125                               // 000000005C78: 7EFA0B7D
	v_pk_mul_f32 v[124:125], v[124:125], v[208:209]            // 000000005C7C: D3B1407C 1803A17C
	v_fma_f32 v124, v124, v193, v222                           // 000000005C84: D1CB007C 077B837C
	v_fma_f32 v125, v125, v193, v223                           // 000000005C8C: D1CB007D 077F837D
	v_perm_b32 v175, v125, v124, s45                           // 000000005C94: D1ED00AF 00B6F97D
	buffer_store_dwordx2 v[174:175], v23, s[16:19], 0 offen    // 000000005C9C: E0741000 8004AE17
	v_cvt_f32_i32_e32 v126, v126                               // 000000005CA4: 7EFC0B7E
	v_cvt_f32_i32_e32 v127, v127                               // 000000005CA8: 7EFE0B7F
	v_pk_mul_f32 v[126:127], v[126:127], v[210:211]            // 000000005CAC: D3B1407E 1803A57E
	v_fma_f32 v126, v126, v193, v224                           // 000000005CB4: D1CB007E 0783837E
	v_fma_f32 v127, v127, v193, v225                           // 000000005CBC: D1CB007F 0787837F
	v_perm_b32 v176, v127, v126, s45                           // 000000005CC4: D1ED00B0 00B6FD7F
	v_cvt_f32_i32_e32 v128, v128                               // 000000005CCC: 7F000B80
	v_cvt_f32_i32_e32 v129, v129                               // 000000005CD0: 7F020B81
	v_pk_mul_f32 v[128:129], v[128:129], v[212:213]            // 000000005CD4: D3B14080 1803A980
	v_fma_f32 v128, v128, v193, v226                           // 000000005CDC: D1CB0080 078B8380
	v_fma_f32 v129, v129, v193, v227                           // 000000005CE4: D1CB0081 078F8381
	v_perm_b32 v177, v129, v128, s45                           // 000000005CEC: D1ED00B1 00B70181
	buffer_store_dwordx2 v[176:177], v23, s[16:19], 0 offen offset:32// 000000005CF4: E0741020 8004B017
	v_cvt_f32_i32_e32 v130, v130                               // 000000005CFC: 7F040B82
	v_cvt_f32_i32_e32 v131, v131                               // 000000005D00: 7F060B83
	v_pk_mul_f32 v[130:131], v[130:131], v[206:207]            // 000000005D04: D3B14082 18039D82
	v_fma_f32 v130, v130, v194, v220                           // 000000005D0C: D1CB0082 07738582
	v_fma_f32 v131, v131, v194, v221                           // 000000005D14: D1CB0083 07778583
	v_perm_b32 v178, v131, v130, s45                           // 000000005D1C: D1ED00B2 00B70583
	v_cvt_f32_i32_e32 v132, v132                               // 000000005D24: 7F080B84
	v_cvt_f32_i32_e32 v133, v133                               // 000000005D28: 7F0A0B85
	v_pk_mul_f32 v[132:133], v[132:133], v[208:209]            // 000000005D2C: D3B14084 1803A184
	v_fma_f32 v132, v132, v194, v222                           // 000000005D34: D1CB0084 077B8584
	v_fma_f32 v133, v133, v194, v223                           // 000000005D3C: D1CB0085 077F8585
	v_perm_b32 v179, v133, v132, s45                           // 000000005D44: D1ED00B3 00B70985
	buffer_store_dwordx2 v[178:179], v24, s[16:19], 0 offen    // 000000005D4C: E0741000 8004B218
	v_cvt_f32_i32_e32 v134, v134                               // 000000005D54: 7F0C0B86
	v_cvt_f32_i32_e32 v135, v135                               // 000000005D58: 7F0E0B87
	v_pk_mul_f32 v[134:135], v[134:135], v[210:211]            // 000000005D5C: D3B14086 1803A586
	v_fma_f32 v134, v134, v194, v224                           // 000000005D64: D1CB0086 07838586
	v_fma_f32 v135, v135, v194, v225                           // 000000005D6C: D1CB0087 07878587
	v_perm_b32 v180, v135, v134, s45                           // 000000005D74: D1ED00B4 00B70D87
	v_cvt_f32_i32_e32 v136, v136                               // 000000005D7C: 7F100B88
	v_cvt_f32_i32_e32 v137, v137                               // 000000005D80: 7F120B89
	v_pk_mul_f32 v[136:137], v[136:137], v[212:213]            // 000000005D84: D3B14088 1803A988
	v_fma_f32 v136, v136, v194, v226                           // 000000005D8C: D1CB0088 078B8588
	v_fma_f32 v137, v137, v194, v227                           // 000000005D94: D1CB0089 078F8589
	v_perm_b32 v181, v137, v136, s45                           // 000000005D9C: D1ED00B5 00B71189
	buffer_store_dwordx2 v[180:181], v24, s[16:19], 0 offen offset:32// 000000005DA4: E0741020 8004B418
	v_cvt_f32_i32_e32 v138, v138                               // 000000005DAC: 7F140B8A
	v_cvt_f32_i32_e32 v139, v139                               // 000000005DB0: 7F160B8B
	v_pk_mul_f32 v[138:139], v[138:139], v[206:207]            // 000000005DB4: D3B1408A 18039D8A
	v_fma_f32 v138, v138, v195, v220                           // 000000005DBC: D1CB008A 0773878A
	v_fma_f32 v139, v139, v195, v221                           // 000000005DC4: D1CB008B 0777878B
	v_perm_b32 v182, v139, v138, s45                           // 000000005DCC: D1ED00B6 00B7158B
	v_cvt_f32_i32_e32 v140, v140                               // 000000005DD4: 7F180B8C
	v_cvt_f32_i32_e32 v141, v141                               // 000000005DD8: 7F1A0B8D
	v_pk_mul_f32 v[140:141], v[140:141], v[208:209]            // 000000005DDC: D3B1408C 1803A18C
	v_fma_f32 v140, v140, v195, v222                           // 000000005DE4: D1CB008C 077B878C
	v_fma_f32 v141, v141, v195, v223                           // 000000005DEC: D1CB008D 077F878D
	v_perm_b32 v183, v141, v140, s45                           // 000000005DF4: D1ED00B7 00B7198D
	buffer_store_dwordx2 v[182:183], v25, s[16:19], 0 offen    // 000000005DFC: E0741000 8004B619
	v_cvt_f32_i32_e32 v142, v142                               // 000000005E04: 7F1C0B8E
	v_cvt_f32_i32_e32 v143, v143                               // 000000005E08: 7F1E0B8F
	v_pk_mul_f32 v[142:143], v[142:143], v[210:211]            // 000000005E0C: D3B1408E 1803A58E
	v_fma_f32 v142, v142, v195, v224                           // 000000005E14: D1CB008E 0783878E
	v_fma_f32 v143, v143, v195, v225                           // 000000005E1C: D1CB008F 0787878F
	v_perm_b32 v184, v143, v142, s45                           // 000000005E24: D1ED00B8 00B71D8F
	v_cvt_f32_i32_e32 v144, v144                               // 000000005E2C: 7F200B90
	v_cvt_f32_i32_e32 v145, v145                               // 000000005E30: 7F220B91
	v_pk_mul_f32 v[144:145], v[144:145], v[212:213]            // 000000005E34: D3B14090 1803A990
	v_fma_f32 v144, v144, v195, v226                           // 000000005E3C: D1CB0090 078B8790
	v_fma_f32 v145, v145, v195, v227                           // 000000005E44: D1CB0091 078F8791
	v_perm_b32 v185, v145, v144, s45                           // 000000005E4C: D1ED00B9 00B72191
	buffer_store_dwordx2 v[184:185], v25, s[16:19], 0 offen offset:32// 000000005E54: E0741020 8004B819

0000000000005e5c <label_0F97>:
	s_waitcnt vmcnt(0) expcnt(0) lgkmcnt(0)                    // 000000005E5C: BF8C0000
	s_endpgm                                                   // 000000005E60: BF810000
